;; amdgpu-corpus repo=ROCm/rocFFT kind=compiled arch=gfx950 opt=O3
	.text
	.amdgcn_target "amdgcn-amd-amdhsa--gfx950"
	.amdhsa_code_object_version 6
	.protected	fft_rtc_back_len1716_factors_13_2_6_11_wgs_156_tpt_156_half_ip_CI_unitstride_sbrr_R2C_dirReg ; -- Begin function fft_rtc_back_len1716_factors_13_2_6_11_wgs_156_tpt_156_half_ip_CI_unitstride_sbrr_R2C_dirReg
	.globl	fft_rtc_back_len1716_factors_13_2_6_11_wgs_156_tpt_156_half_ip_CI_unitstride_sbrr_R2C_dirReg
	.p2align	8
	.type	fft_rtc_back_len1716_factors_13_2_6_11_wgs_156_tpt_156_half_ip_CI_unitstride_sbrr_R2C_dirReg,@function
fft_rtc_back_len1716_factors_13_2_6_11_wgs_156_tpt_156_half_ip_CI_unitstride_sbrr_R2C_dirReg: ; @fft_rtc_back_len1716_factors_13_2_6_11_wgs_156_tpt_156_half_ip_CI_unitstride_sbrr_R2C_dirReg
; %bb.0:
	s_load_dwordx2 s[8:9], s[0:1], 0x50
	s_load_dwordx4 s[4:7], s[0:1], 0x0
	s_load_dwordx2 s[10:11], s[0:1], 0x18
	v_mul_u32_u24_e32 v1, 0x1a5, v0
	v_add_u32_sdwa v6, s2, v1 dst_sel:DWORD dst_unused:UNUSED_PAD src0_sel:DWORD src1_sel:WORD_1
	v_mov_b32_e32 v4, 0
	s_waitcnt lgkmcnt(0)
	v_cmp_lt_u64_e64 s[2:3], s[6:7], 2
	v_mov_b32_e32 v7, v4
	s_and_b64 vcc, exec, s[2:3]
	v_mov_b64_e32 v[2:3], 0
	s_cbranch_vccnz .LBB0_8
; %bb.1:
	s_load_dwordx2 s[2:3], s[0:1], 0x10
	s_add_u32 s12, s10, 8
	s_addc_u32 s13, s11, 0
	s_mov_b64 s[14:15], 1
	v_mov_b64_e32 v[2:3], 0
	s_waitcnt lgkmcnt(0)
	s_add_u32 s16, s2, 8
	s_addc_u32 s17, s3, 0
.LBB0_2:                                ; =>This Inner Loop Header: Depth=1
	s_load_dwordx2 s[18:19], s[16:17], 0x0
                                        ; implicit-def: $vgpr8_vgpr9
	s_waitcnt lgkmcnt(0)
	v_or_b32_e32 v5, s19, v7
	v_cmp_ne_u64_e32 vcc, 0, v[4:5]
	s_and_saveexec_b64 s[2:3], vcc
	s_xor_b64 s[20:21], exec, s[2:3]
	s_cbranch_execz .LBB0_4
; %bb.3:                                ;   in Loop: Header=BB0_2 Depth=1
	v_cvt_f32_u32_e32 v1, s18
	v_cvt_f32_u32_e32 v5, s19
	s_sub_u32 s2, 0, s18
	s_subb_u32 s3, 0, s19
	v_fmac_f32_e32 v1, 0x4f800000, v5
	v_rcp_f32_e32 v1, v1
	s_nop 0
	v_mul_f32_e32 v1, 0x5f7ffffc, v1
	v_mul_f32_e32 v5, 0x2f800000, v1
	v_trunc_f32_e32 v5, v5
	v_fmac_f32_e32 v1, 0xcf800000, v5
	v_cvt_u32_f32_e32 v5, v5
	v_cvt_u32_f32_e32 v1, v1
	v_mul_lo_u32 v8, s2, v5
	v_mul_hi_u32 v10, s2, v1
	v_mul_lo_u32 v9, s3, v1
	v_add_u32_e32 v10, v10, v8
	v_mul_lo_u32 v12, s2, v1
	v_add_u32_e32 v13, v10, v9
	v_mul_hi_u32 v8, v1, v12
	v_mul_hi_u32 v11, v1, v13
	v_mul_lo_u32 v10, v1, v13
	v_mov_b32_e32 v9, v4
	v_lshl_add_u64 v[8:9], v[8:9], 0, v[10:11]
	v_mul_hi_u32 v11, v5, v12
	v_mul_lo_u32 v12, v5, v12
	v_add_co_u32_e32 v8, vcc, v8, v12
	v_mul_hi_u32 v10, v5, v13
	s_nop 0
	v_addc_co_u32_e32 v8, vcc, v9, v11, vcc
	v_mov_b32_e32 v9, v4
	s_nop 0
	v_addc_co_u32_e32 v11, vcc, 0, v10, vcc
	v_mul_lo_u32 v10, v5, v13
	v_lshl_add_u64 v[8:9], v[8:9], 0, v[10:11]
	v_add_co_u32_e32 v1, vcc, v1, v8
	v_mul_lo_u32 v10, s2, v1
	s_nop 0
	v_addc_co_u32_e32 v5, vcc, v5, v9, vcc
	v_mul_lo_u32 v8, s2, v5
	v_mul_hi_u32 v9, s2, v1
	v_add_u32_e32 v8, v9, v8
	v_mul_lo_u32 v9, s3, v1
	v_add_u32_e32 v12, v8, v9
	v_mul_hi_u32 v14, v5, v10
	v_mul_lo_u32 v15, v5, v10
	v_mul_hi_u32 v9, v1, v12
	v_mul_lo_u32 v8, v1, v12
	v_mul_hi_u32 v10, v1, v10
	v_mov_b32_e32 v11, v4
	v_lshl_add_u64 v[8:9], v[10:11], 0, v[8:9]
	v_add_co_u32_e32 v8, vcc, v8, v15
	v_mul_hi_u32 v13, v5, v12
	s_nop 0
	v_addc_co_u32_e32 v8, vcc, v9, v14, vcc
	v_mul_lo_u32 v10, v5, v12
	s_nop 0
	v_addc_co_u32_e32 v11, vcc, 0, v13, vcc
	v_mov_b32_e32 v9, v4
	v_lshl_add_u64 v[8:9], v[8:9], 0, v[10:11]
	v_add_co_u32_e32 v1, vcc, v1, v8
	v_mul_hi_u32 v10, v6, v1
	s_nop 0
	v_addc_co_u32_e32 v5, vcc, v5, v9, vcc
	v_mad_u64_u32 v[8:9], s[2:3], v6, v5, 0
	v_mov_b32_e32 v11, v4
	v_lshl_add_u64 v[8:9], v[10:11], 0, v[8:9]
	v_mad_u64_u32 v[12:13], s[2:3], v7, v1, 0
	v_add_co_u32_e32 v1, vcc, v8, v12
	v_mad_u64_u32 v[10:11], s[2:3], v7, v5, 0
	s_nop 0
	v_addc_co_u32_e32 v8, vcc, v9, v13, vcc
	v_mov_b32_e32 v9, v4
	s_nop 0
	v_addc_co_u32_e32 v11, vcc, 0, v11, vcc
	v_lshl_add_u64 v[8:9], v[8:9], 0, v[10:11]
	v_mul_lo_u32 v1, s19, v8
	v_mul_lo_u32 v5, s18, v9
	v_mad_u64_u32 v[10:11], s[2:3], s18, v8, 0
	v_add3_u32 v1, v11, v5, v1
	v_sub_u32_e32 v5, v7, v1
	v_mov_b32_e32 v11, s19
	v_sub_co_u32_e32 v14, vcc, v6, v10
	v_lshl_add_u64 v[12:13], v[8:9], 0, 1
	s_nop 0
	v_subb_co_u32_e64 v5, s[2:3], v5, v11, vcc
	v_subrev_co_u32_e64 v10, s[2:3], s18, v14
	v_subb_co_u32_e32 v1, vcc, v7, v1, vcc
	s_nop 0
	v_subbrev_co_u32_e64 v5, s[2:3], 0, v5, s[2:3]
	v_cmp_le_u32_e64 s[2:3], s19, v5
	v_cmp_le_u32_e32 vcc, s19, v1
	s_nop 0
	v_cndmask_b32_e64 v11, 0, -1, s[2:3]
	v_cmp_le_u32_e64 s[2:3], s18, v10
	s_nop 1
	v_cndmask_b32_e64 v10, 0, -1, s[2:3]
	v_cmp_eq_u32_e64 s[2:3], s19, v5
	s_nop 1
	v_cndmask_b32_e64 v5, v11, v10, s[2:3]
	v_lshl_add_u64 v[10:11], v[8:9], 0, 2
	v_cmp_ne_u32_e64 s[2:3], 0, v5
	s_nop 1
	v_cndmask_b32_e64 v5, v13, v11, s[2:3]
	v_cndmask_b32_e64 v11, 0, -1, vcc
	v_cmp_le_u32_e32 vcc, s18, v14
	s_nop 1
	v_cndmask_b32_e64 v13, 0, -1, vcc
	v_cmp_eq_u32_e32 vcc, s19, v1
	s_nop 1
	v_cndmask_b32_e32 v1, v11, v13, vcc
	v_cmp_ne_u32_e32 vcc, 0, v1
	v_cndmask_b32_e64 v1, v12, v10, s[2:3]
	s_nop 0
	v_cndmask_b32_e32 v9, v9, v5, vcc
	v_cndmask_b32_e32 v8, v8, v1, vcc
.LBB0_4:                                ;   in Loop: Header=BB0_2 Depth=1
	s_andn2_saveexec_b64 s[2:3], s[20:21]
	s_cbranch_execz .LBB0_6
; %bb.5:                                ;   in Loop: Header=BB0_2 Depth=1
	v_cvt_f32_u32_e32 v1, s18
	s_sub_i32 s20, 0, s18
	v_rcp_iflag_f32_e32 v1, v1
	s_nop 0
	v_mul_f32_e32 v1, 0x4f7ffffe, v1
	v_cvt_u32_f32_e32 v1, v1
	v_mul_lo_u32 v5, s20, v1
	v_mul_hi_u32 v5, v1, v5
	v_add_u32_e32 v1, v1, v5
	v_mul_hi_u32 v1, v6, v1
	v_mul_lo_u32 v5, v1, s18
	v_sub_u32_e32 v5, v6, v5
	v_add_u32_e32 v8, 1, v1
	v_subrev_u32_e32 v9, s18, v5
	v_cmp_le_u32_e32 vcc, s18, v5
	s_nop 1
	v_cndmask_b32_e32 v5, v5, v9, vcc
	v_cndmask_b32_e32 v1, v1, v8, vcc
	v_add_u32_e32 v8, 1, v1
	v_cmp_le_u32_e32 vcc, s18, v5
	v_mov_b32_e32 v9, v4
	s_nop 0
	v_cndmask_b32_e32 v8, v1, v8, vcc
.LBB0_6:                                ;   in Loop: Header=BB0_2 Depth=1
	s_or_b64 exec, exec, s[2:3]
	v_mad_u64_u32 v[10:11], s[2:3], v8, s18, 0
	s_load_dwordx2 s[2:3], s[12:13], 0x0
	v_mul_lo_u32 v1, v9, s18
	v_mul_lo_u32 v5, v8, s19
	v_add3_u32 v1, v11, v5, v1
	v_sub_co_u32_e32 v5, vcc, v6, v10
	s_add_u32 s14, s14, 1
	s_nop 0
	v_subb_co_u32_e32 v1, vcc, v7, v1, vcc
	s_addc_u32 s15, s15, 0
	s_waitcnt lgkmcnt(0)
	v_mul_lo_u32 v1, s2, v1
	v_mul_lo_u32 v6, s3, v5
	v_mad_u64_u32 v[2:3], s[2:3], s2, v5, v[2:3]
	s_add_u32 s12, s12, 8
	v_add3_u32 v3, v6, v3, v1
	s_addc_u32 s13, s13, 0
	v_mov_b64_e32 v[6:7], s[6:7]
	s_add_u32 s16, s16, 8
	v_cmp_ge_u64_e32 vcc, s[14:15], v[6:7]
	s_addc_u32 s17, s17, 0
	s_cbranch_vccnz .LBB0_9
; %bb.7:                                ;   in Loop: Header=BB0_2 Depth=1
	v_mov_b64_e32 v[6:7], v[8:9]
	s_branch .LBB0_2
.LBB0_8:
	v_mov_b64_e32 v[8:9], v[6:7]
.LBB0_9:
	s_lshl_b64 s[2:3], s[6:7], 3
	s_add_u32 s2, s10, s2
	s_addc_u32 s3, s11, s3
	s_load_dwordx2 s[6:7], s[2:3], 0x0
	s_load_dwordx2 s[10:11], s[0:1], 0x20
	s_mov_b32 s2, 0x1a41a42
	s_waitcnt lgkmcnt(0)
	v_mul_lo_u32 v1, s6, v9
	v_mul_lo_u32 v6, s7, v8
	v_mad_u64_u32 v[4:5], s[0:1], s6, v8, v[2:3]
	v_add3_u32 v5, v6, v5, v1
	v_mul_hi_u32 v1, v0, s2
	v_mul_u32_u24_e32 v1, 0x9c, v1
	v_sub_u32_e32 v2, v0, v1
	v_cmp_gt_u64_e64 s[0:1], s[10:11], v[8:9]
	v_lshl_add_u64 v[0:1], v[4:5], 2, s[8:9]
	v_lshl_add_u32 v16, v2, 2, 0
	s_and_saveexec_b64 s[2:3], s[0:1]
	s_cbranch_execz .LBB0_11
; %bb.10:
	v_mov_b32_e32 v3, 0
	v_lshl_add_u64 v[4:5], v[2:3], 2, v[0:1]
	v_add_co_u32_e32 v6, vcc, 0x1000, v4
	s_nop 1
	v_addc_co_u32_e32 v7, vcc, 0, v5, vcc
	global_load_dword v3, v[4:5], off
	global_load_dword v8, v[4:5], off offset:624
	global_load_dword v9, v[4:5], off offset:1248
	;; [unrolled: 1-line block ×10, first 2 shown]
	v_add_u32_e32 v4, 0x400, v16
	v_add_u32_e32 v5, 0x900, v16
	;; [unrolled: 1-line block ×4, first 2 shown]
	s_waitcnt vmcnt(9)
	ds_write2_b32 v16, v3, v8 offset1:156
	s_waitcnt vmcnt(7)
	ds_write2_b32 v4, v9, v10 offset0:56 offset1:212
	s_waitcnt vmcnt(5)
	ds_write2_b32 v5, v11, v12 offset0:48 offset1:204
	;; [unrolled: 2-line block ×4, first 2 shown]
	s_waitcnt vmcnt(0)
	ds_write_b32 v16, v18 offset:6240
.LBB0_11:
	s_or_b64 exec, exec, s[2:3]
	v_add_u32_e32 v3, 0x400, v16
	s_waitcnt lgkmcnt(0)
	s_barrier
	ds_read2_b32 v[14:15], v3 offset0:8 offset1:140
	v_add_u32_e32 v3, 0x800, v16
	ds_read2_b32 v[12:13], v3 offset0:16 offset1:148
	v_add_u32_e32 v3, 0xc00, v16
	ds_read2_b32 v[4:5], v16 offset1:132
	ds_read2_b32 v[8:9], v3 offset0:24 offset1:156
	ds_read_b32 v32, v16 offset:6336
	v_add_u32_e32 v22, 0x1400, v16
	ds_read2_b32 v[6:7], v22 offset0:40 offset1:172
	v_add_u32_e32 v3, 0x1000, v16
	ds_read2_b32 v[10:11], v3 offset0:32 offset1:164
	s_waitcnt lgkmcnt(2)
	v_pk_add_f16 v17, v5, v32 neg_lo:[0,1] neg_hi:[0,1]
	s_mov_b32 s17, 0xba95
	v_pk_add_f16 v25, v32, v5
	v_pk_mul_f16 v3, v17, s17 op_sel_hi:[1,0]
	s_movk_i32 s7, 0x388b
	s_waitcnt lgkmcnt(1)
	v_pk_add_f16 v18, v14, v7 neg_lo:[0,1] neg_hi:[0,1]
	s_mov_b32 s6, 0xbb7b
	v_pk_add_f16 v29, v8, v9 neg_lo:[0,1] neg_hi:[0,1]
	s_movk_i32 s12, 0x3770
	v_pk_fma_f16 v34, v25, s7, v3 op_sel:[0,0,1] op_sel_hi:[1,0,0] neg_lo:[0,0,1] neg_hi:[0,0,1]
	v_pk_fma_f16 v35, v25, s7, v3 op_sel:[0,0,1] op_sel_hi:[1,0,0]
	v_pk_add_f16 v27, v7, v14
	v_pk_mul_f16 v3, v18, s6 op_sel_hi:[1,0]
	s_mov_b32 s9, 0xb5ac
	v_pk_add_f16 v23, v15, v6 neg_lo:[0,1] neg_hi:[0,1]
	s_mov_b32 s8, 0xb3a8
	v_pk_add_f16 v33, v9, v8
	v_pk_mul_f16 v19, v29, s12 op_sel_hi:[1,0]
	s_movk_i32 s15, 0x3b15
	v_pk_fma_f16 v36, v27, s9, v3 op_sel:[0,0,1] op_sel_hi:[1,0,0] neg_lo:[0,0,1] neg_hi:[0,0,1]
	v_pk_fma_f16 v37, v27, s9, v3 op_sel:[0,0,1] op_sel_hi:[1,0,0]
	v_pk_add_f16 v28, v6, v15
	v_pk_mul_f16 v3, v23, s8 op_sel_hi:[1,0]
	s_mov_b32 s13, 0xbbc4
	s_waitcnt lgkmcnt(0)
	v_pk_add_f16 v24, v12, v11 neg_lo:[0,1] neg_hi:[0,1]
	s_movk_i32 s20, 0x394e
	v_pk_fma_f16 v44, v33, s15, v19 op_sel:[0,0,1] op_sel_hi:[1,0,0] neg_lo:[0,0,1] neg_hi:[0,0,1]
	v_pk_fma_f16 v45, v33, s15, v19 op_sel:[0,0,1] op_sel_hi:[1,0,0]
	v_add_f16_sdwa v19, v4, v35 dst_sel:DWORD dst_unused:UNUSED_PAD src0_sel:WORD_1 src1_sel:WORD_1
	v_pk_fma_f16 v38, v28, s13, v3 op_sel:[0,0,1] op_sel_hi:[1,0,0] neg_lo:[0,0,1] neg_hi:[0,0,1]
	v_pk_fma_f16 v39, v28, s13, v3 op_sel:[0,0,1] op_sel_hi:[1,0,0]
	v_pk_add_f16 v30, v11, v12
	v_pk_mul_f16 v3, v24, s20 op_sel_hi:[1,0]
	s_mov_b32 s14, 0xb9fd
	v_pk_add_f16 v26, v13, v10 neg_lo:[0,1] neg_hi:[0,1]
	s_movk_i32 s10, 0x3bf1
	v_add_f16_sdwa v19, v37, v19 dst_sel:DWORD dst_unused:UNUSED_PAD src0_sel:WORD_1 src1_sel:DWORD
	v_pk_fma_f16 v40, v30, s14, v3 op_sel:[0,0,1] op_sel_hi:[1,0,0] neg_lo:[0,0,1] neg_hi:[0,0,1]
	v_pk_fma_f16 v41, v30, s14, v3 op_sel:[0,0,1] op_sel_hi:[1,0,0]
	v_pk_add_f16 v31, v10, v13
	v_pk_mul_f16 v3, v26, s10 op_sel_hi:[1,0]
	s_movk_i32 s11, 0x2fb7
	v_add_f16_sdwa v19, v39, v19 dst_sel:DWORD dst_unused:UNUSED_PAD src0_sel:WORD_1 src1_sel:DWORD
	v_pk_fma_f16 v43, v31, s11, v3 op_sel:[0,0,1] op_sel_hi:[1,0,0]
	v_add_f16_sdwa v19, v41, v19 dst_sel:DWORD dst_unused:UNUSED_PAD src0_sel:WORD_1 src1_sel:DWORD
	v_add_f16_sdwa v19, v43, v19 dst_sel:DWORD dst_unused:UNUSED_PAD src0_sel:WORD_1 src1_sel:DWORD
	s_mov_b32 s18, 0xbbf1
	v_add_f16_sdwa v20, v45, v19 dst_sel:DWORD dst_unused:UNUSED_PAD src0_sel:WORD_1 src1_sel:DWORD
	v_pk_mul_f16 v19, v17, s18 op_sel_hi:[1,0]
	s_movk_i32 s21, 0x3b7b
	v_pk_fma_f16 v46, v25, s11, v19 op_sel:[0,0,1] op_sel_hi:[1,0,0] neg_lo:[0,0,1] neg_hi:[0,0,1]
	v_pk_fma_f16 v47, v25, s11, v19 op_sel:[0,0,1] op_sel_hi:[1,0,0]
	v_pk_mul_f16 v19, v18, s8 op_sel_hi:[1,0]
	s_mov_b32 s16, 0xb94e
	v_pk_fma_f16 v48, v27, s13, v19 op_sel:[0,0,1] op_sel_hi:[1,0,0] neg_lo:[0,0,1] neg_hi:[0,0,1]
	v_pk_fma_f16 v49, v27, s13, v19 op_sel:[0,0,1] op_sel_hi:[1,0,0]
	v_pk_mul_f16 v19, v23, s21 op_sel_hi:[1,0]
	v_pk_mul_f16 v21, v29, s16 op_sel_hi:[1,0]
	v_pk_fma_f16 v50, v28, s9, v19 op_sel:[0,0,1] op_sel_hi:[1,0,0] neg_lo:[0,0,1] neg_hi:[0,0,1]
	v_pk_fma_f16 v51, v28, s9, v19 op_sel:[0,0,1] op_sel_hi:[1,0,0]
	v_pk_mul_f16 v19, v24, s12 op_sel_hi:[1,0]
	v_pk_fma_f16 v42, v31, s11, v3 op_sel:[0,0,1] op_sel_hi:[1,0,0] neg_lo:[0,0,1] neg_hi:[0,0,1]
	v_pk_fma_f16 v52, v30, s15, v19 op_sel:[0,0,1] op_sel_hi:[1,0,0] neg_lo:[0,0,1] neg_hi:[0,0,1]
	v_pk_fma_f16 v53, v30, s15, v19 op_sel:[0,0,1] op_sel_hi:[1,0,0]
	v_pk_mul_f16 v19, v26, s17 op_sel_hi:[1,0]
	v_add_f16_e32 v3, v4, v34
	v_pk_fma_f16 v54, v31, s7, v19 op_sel:[0,0,1] op_sel_hi:[1,0,0] neg_lo:[0,0,1] neg_hi:[0,0,1]
	v_pk_fma_f16 v55, v31, s7, v19 op_sel:[0,0,1] op_sel_hi:[1,0,0]
	v_pk_fma_f16 v56, v33, s14, v21 op_sel:[0,0,1] op_sel_hi:[1,0,0] neg_lo:[0,0,1] neg_hi:[0,0,1]
	v_add_f16_e32 v19, v4, v46
	v_pk_fma_f16 v57, v33, s14, v21 op_sel:[0,0,1] op_sel_hi:[1,0,0]
	v_add_f16_sdwa v21, v4, v47 dst_sel:DWORD dst_unused:UNUSED_PAD src0_sel:WORD_1 src1_sel:WORD_1
	v_add_f16_e32 v3, v36, v3
	v_add_f16_e32 v19, v48, v19
	v_add_f16_sdwa v21, v49, v21 dst_sel:DWORD dst_unused:UNUSED_PAD src0_sel:WORD_1 src1_sel:DWORD
	v_add_f16_e32 v3, v38, v3
	v_add_f16_e32 v19, v50, v19
	v_add_f16_sdwa v21, v51, v21 dst_sel:DWORD dst_unused:UNUSED_PAD src0_sel:WORD_1 src1_sel:DWORD
	;; [unrolled: 3-line block ×4, first 2 shown]
	s_movk_i32 s2, 0x84
	v_add_f16_e32 v3, v44, v3
	v_add_f16_e32 v19, v56, v19
	v_add_f16_sdwa v21, v57, v21 dst_sel:DWORD dst_unused:UNUSED_PAD src0_sel:WORD_1 src1_sel:DWORD
	v_cmp_gt_u32_e32 vcc, s2, v2
	s_barrier
	s_and_saveexec_b64 s[2:3], vcc
	s_cbranch_execz .LBB0_13
; %bb.12:
	v_mul_f16_e32 v58, 0xbb7b, v17
	v_lshrrev_b32_e32 v59, 16, v25
	v_fma_f16 v60, v59, s9, v58
	v_mul_f16_e32 v61, 0x394e, v18
	v_lshrrev_b32_e32 v62, 16, v27
	v_add_f16_sdwa v60, v4, v60 dst_sel:DWORD dst_unused:UNUSED_PAD src0_sel:WORD_1 src1_sel:DWORD
	v_fma_f16 v63, v62, s14, v61
	v_add_f16_e32 v60, v63, v60
	v_mul_f16_e32 v63, 0x3770, v23
	v_lshrrev_b32_e32 v64, 16, v28
	v_fma_f16 v65, v64, s15, v63
	v_add_f16_e32 v60, v65, v60
	v_mul_f16_e32 v65, 0xbbf1, v24
	v_lshrrev_b32_e32 v66, 16, v30
	v_fma_f16 v67, v66, s11, v65
	v_add_f16_e32 v60, v67, v60
	v_mul_f16_e32 v67, 0x33a8, v26
	v_lshrrev_b32_e32 v68, 16, v31
	v_fma_f16 v69, v68, s13, v67
	v_add_f16_e32 v60, v69, v60
	v_mul_f16_e32 v69, 0x3a95, v29
	v_lshrrev_b32_e32 v70, 16, v33
	v_fma_f16 v71, v70, s7, v69
	v_add_f16_e32 v60, v71, v60
	v_mul_f16_sdwa v71, v17, s6 dst_sel:DWORD dst_unused:UNUSED_PAD src0_sel:WORD_1 src1_sel:DWORD
	v_fma_f16 v72, v25, s9, -v71
	v_mul_f16_sdwa v73, v18, s20 dst_sel:DWORD dst_unused:UNUSED_PAD src0_sel:WORD_1 src1_sel:DWORD
	v_add_f16_e32 v72, v4, v72
	v_fma_f16 v74, v27, s14, -v73
	v_add_f16_e32 v72, v74, v72
	v_mul_f16_sdwa v74, v23, s12 dst_sel:DWORD dst_unused:UNUSED_PAD src0_sel:WORD_1 src1_sel:DWORD
	v_fma_f16 v75, v28, s15, -v74
	v_add_f16_e32 v72, v75, v72
	v_mul_f16_sdwa v75, v24, s18 dst_sel:DWORD dst_unused:UNUSED_PAD src0_sel:WORD_1 src1_sel:DWORD
	v_fma_f16 v76, v30, s11, -v75
	s_movk_i32 s22, 0x33a8
	v_add_f16_e32 v72, v76, v72
	v_mul_f16_sdwa v76, v26, s22 dst_sel:DWORD dst_unused:UNUSED_PAD src0_sel:WORD_1 src1_sel:DWORD
	v_fma_f16 v77, v31, s13, -v76
	s_movk_i32 s19, 0x3a95
	v_add_f16_e32 v72, v77, v72
	v_mul_f16_sdwa v77, v29, s19 dst_sel:DWORD dst_unused:UNUSED_PAD src0_sel:WORD_1 src1_sel:DWORD
	v_fma_f16 v78, v33, s7, -v77
	v_add_f16_e32 v72, v78, v72
	v_mul_f16_e32 v78, 0xb94e, v17
	v_fma_f16 v79, v59, s14, v78
	v_mul_f16_e32 v80, 0x3bf1, v18
	v_add_f16_sdwa v79, v4, v79 dst_sel:DWORD dst_unused:UNUSED_PAD src0_sel:WORD_1 src1_sel:DWORD
	v_fma_f16 v81, v62, s11, v80
	v_add_f16_e32 v79, v81, v79
	v_mul_f16_e32 v81, 0xba95, v23
	v_fma_f16 v82, v64, s7, v81
	v_add_f16_e32 v79, v82, v79
	v_mul_f16_e32 v82, 0x33a8, v24
	;; [unrolled: 3-line block ×4, first 2 shown]
	v_fma_f16 v85, v70, s9, v84
	v_add_f16_e32 v79, v85, v79
	v_mul_f16_sdwa v85, v17, s16 dst_sel:DWORD dst_unused:UNUSED_PAD src0_sel:WORD_1 src1_sel:DWORD
	v_fma_f16 v86, v25, s14, -v85
	v_mul_f16_sdwa v87, v18, s10 dst_sel:DWORD dst_unused:UNUSED_PAD src0_sel:WORD_1 src1_sel:DWORD
	v_add_f16_e32 v86, v4, v86
	v_fma_f16 v88, v27, s11, -v87
	v_add_f16_e32 v86, v88, v86
	v_mul_f16_sdwa v88, v23, s17 dst_sel:DWORD dst_unused:UNUSED_PAD src0_sel:WORD_1 src1_sel:DWORD
	v_fma_f16 v89, v28, s7, -v88
	v_add_f16_e32 v86, v89, v86
	v_mul_f16_sdwa v89, v24, s22 dst_sel:DWORD dst_unused:UNUSED_PAD src0_sel:WORD_1 src1_sel:DWORD
	s_mov_b32 s22, 0xffff
	v_bfi_b32 v34, s22, v35, v34
	v_bfi_b32 v35, s22, v37, v36
	;; [unrolled: 1-line block ×3, first 2 shown]
	v_mul_f16_e32 v40, 0x3b15, v59
	v_bfi_b32 v36, s22, v39, v38
	v_bfi_b32 v38, s22, v43, v42
	v_fma_f16 v41, v17, s12, v40
	v_mul_f16_e32 v42, 0x388b, v62
	v_add_f16_sdwa v41, v4, v41 dst_sel:DWORD dst_unused:UNUSED_PAD src0_sel:WORD_1 src1_sel:DWORD
	v_fma_f16 v43, v18, s19, v42
	v_pk_add_f16 v5, v4, v5
	v_add_f16_e32 v41, v43, v41
	v_mul_f16_e32 v43, 0x2fb7, v64
	v_pk_add_f16 v5, v5, v14
	v_bfi_b32 v39, s22, v45, v44
	v_fma_f16 v44, v23, s10, v43
	v_pk_add_f16 v5, v5, v15
	v_add_f16_e32 v41, v44, v41
	v_mul_f16_e32 v44, 0xb5ac, v66
	v_pk_add_f16 v5, v5, v12
	v_fma_f16 v45, v24, s21, v44
	v_pk_add_f16 v5, v5, v13
	v_add_f16_e32 v41, v45, v41
	v_mul_f16_e32 v45, 0xb9fd, v68
	v_pk_add_f16 v5, v5, v8
	v_bfi_b32 v46, s22, v47, v46
	v_bfi_b32 v47, s22, v49, v48
	;; [unrolled: 1-line block ×3, first 2 shown]
	v_fma_f16 v52, v26, s20, v45
	s_mov_b32 s20, 0xb770
	v_pk_add_f16 v5, v5, v9
	v_add_f16_e32 v41, v52, v41
	v_pk_add_f16 v5, v5, v10
	v_fma_f16 v10, v17, s20, v40
	v_mul_f16_sdwa v52, v17, s20 dst_sel:DWORD dst_unused:UNUSED_PAD src0_sel:WORD_1 src1_sel:DWORD
	v_pk_add_f16 v5, v5, v11
	v_add_f16_sdwa v10, v4, v10 dst_sel:DWORD dst_unused:UNUSED_PAD src0_sel:WORD_1 src1_sel:DWORD
	v_fma_f16 v11, v18, s17, v42
	v_fma_f16 v14, v25, s15, v52
	v_mul_f16_sdwa v15, v18, s17 dst_sel:DWORD dst_unused:UNUSED_PAD src0_sel:WORD_1 src1_sel:DWORD
	v_add_f16_e32 v10, v11, v10
	v_fma_f16 v11, v23, s18, v43
	v_add_f16_e32 v14, v4, v14
	v_fma_f16 v53, v27, s7, v15
	v_mul_f16_sdwa v12, v23, s18 dst_sel:DWORD dst_unused:UNUSED_PAD src0_sel:WORD_1 src1_sel:DWORD
	v_add_f16_e32 v10, v11, v10
	v_fma_f16 v11, v24, s6, v44
	v_add_f16_e32 v14, v53, v14
	v_fma_f16 v13, v28, s11, v12
	;; [unrolled: 2-line block ×3, first 2 shown]
	v_fma_f16 v78, v59, s14, -v78
	v_fma_f16 v58, v59, s9, -v58
	v_add_f16_e32 v13, v13, v14
	v_mul_f16_sdwa v14, v24, s6 dst_sel:DWORD dst_unused:UNUSED_PAD src0_sel:WORD_1 src1_sel:DWORD
	v_add_f16_e32 v10, v11, v10
	v_fma_f16 v11, v25, s15, -v52
	v_add_f16_sdwa v78, v4, v78 dst_sel:DWORD dst_unused:UNUSED_PAD src0_sel:WORD_1 src1_sel:DWORD
	v_fma_f16 v80, v62, s11, -v80
	v_add_f16_sdwa v58, v4, v58 dst_sel:DWORD dst_unused:UNUSED_PAD src0_sel:WORD_1 src1_sel:DWORD
	v_fma_f16 v61, v62, s14, -v61
	v_fma_f16 v53, v30, s9, v14
	v_mul_f16_sdwa v8, v26, s16 dst_sel:DWORD dst_unused:UNUSED_PAD src0_sel:WORD_1 src1_sel:DWORD
	v_add_f16_e32 v11, v4, v11
	v_fma_f16 v15, v27, s7, -v15
	v_add_f16_e32 v78, v80, v78
	v_fma_f16 v80, v64, s7, -v81
	;; [unrolled: 2-line block ×3, first 2 shown]
	v_add_f16_e32 v13, v53, v13
	v_fma_f16 v9, v31, s14, v8
	v_add_f16_e32 v11, v15, v11
	v_fma_f16 v12, v28, s11, -v12
	v_add_f16_e32 v78, v80, v78
	v_fma_f16 v80, v66, s13, -v82
	;; [unrolled: 2-line block ×3, first 2 shown]
	v_add_f16_e32 v9, v9, v13
	v_pk_mul_f16 v13, v29, s8 op_sel_hi:[1,0]
	v_add_f16_e32 v11, v12, v11
	v_fma_f16 v12, v30, s9, -v14
	v_pk_add_f16 v5, v5, v6
	v_add_f16_e32 v78, v80, v78
	v_fma_f16 v80, v68, s15, -v83
	v_add_f16_e32 v58, v61, v58
	v_fma_f16 v61, v68, s13, -v67
	v_add_f16_e32 v11, v12, v11
	v_pk_add_f16 v5, v5, v7
	v_pk_fma_f16 v7, v33, s13, v13 op_sel:[0,0,1] op_sel_hi:[1,0,0]
	v_pk_fma_f16 v12, v33, s13, v13 op_sel:[0,0,1] op_sel_hi:[1,0,0] neg_lo:[0,0,1] neg_hi:[0,0,1]
	v_add_f16_e32 v78, v80, v78
	v_fma_f16 v80, v70, s9, -v84
	v_add_f16_e32 v58, v61, v58
	v_fma_f16 v61, v70, s7, -v69
	v_fma_f16 v8, v31, s14, -v8
	v_bfi_b32 v7, s22, v7, v12
	v_pack_b32_f16 v9, v9, v41
	v_add_f16_e32 v78, v80, v78
	v_fma_f16 v80, v25, s14, v85
	v_add_f16_e32 v58, v61, v58
	v_fma_f16 v61, v25, s9, v71
	v_add_f16_e32 v8, v8, v11
	v_mad_u32_u24 v11, v2, 48, v16
	v_pk_add_f16 v7, v7, v9
	v_pk_add_f16 v5, v5, v32
	v_fma_f16 v90, v30, s13, -v89
	v_add_f16_e32 v80, v4, v80
	v_fma_f16 v81, v27, s11, v87
	v_add_f16_e32 v61, v4, v61
	v_fma_f16 v63, v27, s14, v73
	ds_write2_b32 v11, v5, v7 offset1:1
	v_pk_add_f16 v5, v4, v34
	v_pk_add_f16 v7, v4, v46
	v_add_f16_e32 v86, v90, v86
	v_mul_f16_sdwa v90, v26, s12 dst_sel:DWORD dst_unused:UNUSED_PAD src0_sel:WORD_1 src1_sel:DWORD
	v_add_f16_e32 v80, v81, v80
	v_fma_f16 v81, v28, s7, v88
	v_add_f16_e32 v61, v63, v61
	v_fma_f16 v63, v28, s15, v74
	v_bfi_b32 v48, s22, v51, v50
	v_pk_add_f16 v5, v35, v5
	v_pk_add_f16 v7, v47, v7
	v_fma_f16 v91, v31, s15, -v90
	v_add_f16_e32 v80, v81, v80
	v_fma_f16 v81, v30, s13, v89
	v_add_f16_e32 v61, v63, v61
	v_fma_f16 v63, v30, s11, v75
	v_pk_add_f16 v5, v36, v5
	v_pk_add_f16 v7, v48, v7
	v_add_f16_e32 v86, v91, v86
	v_mul_f16_sdwa v91, v29, s6 dst_sel:DWORD dst_unused:UNUSED_PAD src0_sel:WORD_1 src1_sel:DWORD
	v_add_f16_e32 v80, v81, v80
	v_fma_f16 v81, v31, s15, v90
	v_add_f16_e32 v61, v63, v61
	v_fma_f16 v63, v31, s13, v76
	v_bfi_b32 v50, s22, v55, v54
	v_pk_add_f16 v5, v37, v5
	v_pk_add_f16 v7, v49, v7
	v_add_f16_e32 v80, v81, v80
	v_fma_f16 v81, v33, s9, v91
	v_add_f16_e32 v61, v63, v61
	v_fma_f16 v63, v33, s7, v77
	v_bfi_b32 v51, s22, v57, v56
	v_pk_add_f16 v5, v38, v5
	v_pk_add_f16 v7, v50, v7
	v_add_f16_e32 v80, v81, v80
	v_add_f16_e32 v61, v63, v61
	v_pk_add_f16 v5, v39, v5
	v_pk_add_f16 v7, v51, v7
	v_pk_mul_f16 v6, v33, s13 op_sel_hi:[1,0]
	ds_write2_b32 v11, v5, v7 offset0:2 offset1:3
	v_pack_b32_f16 v5, v80, v78
	v_pack_b32_f16 v7, v61, v58
	v_add_f16_sdwa v9, v13, v6 dst_sel:DWORD dst_unused:UNUSED_PAD src0_sel:DWORD src1_sel:WORD_1
	v_sub_f16_sdwa v6, v6, v13 dst_sel:DWORD dst_unused:UNUSED_PAD src0_sel:DWORD src1_sel:WORD_1
	ds_write2_b32 v11, v7, v5 offset0:4 offset1:5
	v_pk_mul_f16 v5, v25, s13 op_sel_hi:[1,0]
	v_add_f16_e32 v9, v9, v10
	v_add_f16_e32 v6, v6, v8
	v_pk_fma_f16 v7, v17, s8, v5 op_sel:[0,0,1] op_sel_hi:[1,0,0]
	v_alignbit_b32 v8, s0, v4, 16
	v_pk_mul_f16 v10, v27, s15 op_sel_hi:[1,0]
	v_pk_add_f16 v8, v8, v7
	v_pk_fma_f16 v12, v18, s12, v10 op_sel:[0,0,1] op_sel_hi:[1,0,0]
	v_pk_mul_f16 v13, v28, s14 op_sel_hi:[1,0]
	v_pk_fma_f16 v5, v17, s8, v5 op_sel:[0,0,1] op_sel_hi:[1,0,0] neg_lo:[1,0,0] neg_hi:[1,0,0]
	v_alignbit_b32 v7, s0, v7, 16
	v_pk_fma_f16 v14, v23, s16, v13 op_sel:[0,0,1] op_sel_hi:[1,0,0]
	v_pk_mul_f16 v15, v30, s7 op_sel_hi:[1,0]
	v_pk_add_f16 v5, v4, v5 op_sel:[1,0] op_sel_hi:[0,1]
	v_pk_fma_f16 v10, v18, s12, v10 op_sel:[0,0,1] op_sel_hi:[1,0,0] neg_lo:[1,0,0] neg_hi:[1,0,0]
	v_pk_add_f16 v4, v4, v7
	v_alignbit_b32 v7, s0, v12, 16
	v_pk_add_f16 v8, v12, v8
	v_pk_fma_f16 v25, v24, s19, v15 op_sel:[0,0,1] op_sel_hi:[1,0,0]
	v_pk_mul_f16 v27, v31, s9 op_sel_hi:[1,0]
	v_pk_add_f16 v5, v10, v5
	v_pk_fma_f16 v10, v23, s16, v13 op_sel:[0,0,1] op_sel_hi:[1,0,0] neg_lo:[1,0,0] neg_hi:[1,0,0]
	v_pk_add_f16 v4, v7, v4
	v_alignbit_b32 v7, s0, v14, 16
	v_pk_add_f16 v8, v14, v8
	v_pk_fma_f16 v28, v26, s6, v27 op_sel:[0,0,1] op_sel_hi:[1,0,0]
	v_pk_mul_f16 v30, v33, s11 op_sel_hi:[1,0]
	v_pk_add_f16 v5, v10, v5
	v_pk_fma_f16 v10, v24, s19, v15 op_sel:[0,0,1] op_sel_hi:[1,0,0] neg_lo:[1,0,0] neg_hi:[1,0,0]
	v_pk_add_f16 v4, v7, v4
	v_alignbit_b32 v7, s0, v25, 16
	v_pk_add_f16 v8, v25, v8
	v_pk_fma_f16 v31, v29, s10, v30 op_sel:[0,0,1] op_sel_hi:[1,0,0]
	v_pk_add_f16 v5, v10, v5
	v_pk_fma_f16 v10, v26, s6, v27 op_sel:[0,0,1] op_sel_hi:[1,0,0] neg_lo:[1,0,0] neg_hi:[1,0,0]
	v_pk_add_f16 v4, v7, v4
	v_alignbit_b32 v7, s0, v28, 16
	v_pk_add_f16 v8, v28, v8
	v_pk_add_f16 v5, v10, v5
	v_pk_fma_f16 v10, v29, s10, v30 op_sel:[0,0,1] op_sel_hi:[1,0,0] neg_lo:[1,0,0] neg_hi:[1,0,0]
	v_pk_add_f16 v4, v7, v4
	v_alignbit_b32 v7, s0, v31, 16
	v_fma_f16 v92, v33, s9, -v91
	v_pk_add_f16 v8, v31, v8
	v_pk_add_f16 v5, v10, v5
	;; [unrolled: 1-line block ×3, first 2 shown]
	v_add_f16_e32 v86, v92, v86
	v_alignbit_b32 v7, v8, v5, 16
	v_pack_b32_f16 v4, v4, v5
	ds_write2_b32 v11, v4, v7 offset0:6 offset1:7
	v_pack_b32_f16 v4, v72, v60
	v_pack_b32_f16 v5, v86, v79
	s_mov_b32 s6, 0x5040100
	ds_write2_b32 v11, v5, v4 offset0:8 offset1:9
	v_perm_b32 v4, v20, v3, s6
	v_perm_b32 v5, v21, v19, s6
	ds_write2_b32 v11, v5, v4 offset0:10 offset1:11
	v_pack_b32_f16 v4, v6, v9
	ds_write_b32 v11, v4 offset:48
.LBB0_13:
	s_or_b64 exec, exec, s[2:3]
	v_add_u32_e32 v4, 0x980, v16
	s_waitcnt lgkmcnt(0)
	s_barrier
	ds_read2_b32 v[10:11], v4 offset0:16 offset1:250
	v_add_u32_e32 v4, 0xf00, v16
	v_add_u32_e32 v6, 0x138, v2
	ds_read2_b32 v[12:13], v4 offset0:54 offset1:210
	v_add_u32_e32 v4, 0x1d4, v2
	v_lshl_add_u32 v18, v6, 2, 0
	ds_read2_b32 v[8:9], v16 offset1:156
	v_lshl_add_u32 v17, v4, 2, 0
	ds_read_b32 v23, v18
	ds_read_b32 v24, v17
	ds_read2_b32 v[14:15], v22 offset0:46 offset1:202
	s_movk_i32 s2, 0x4e
	v_cmp_gt_u32_e32 vcc, s2, v2
	s_and_saveexec_b64 s[2:3], vcc
	s_cbranch_execz .LBB0_15
; %bb.14:
	ds_read_b32 v19, v16 offset:3120
	ds_read_b32 v3, v16 offset:6552
	s_waitcnt lgkmcnt(1)
	v_lshrrev_b32_e32 v21, 16, v19
	s_waitcnt lgkmcnt(0)
	v_lshrrev_b32_e32 v20, 16, v3
.LBB0_15:
	s_or_b64 exec, exec, s[2:3]
	s_movk_i32 s2, 0x4f
	v_mul_lo_u16_sdwa v22, v2, s2 dst_sel:DWORD dst_unused:UNUSED_PAD src0_sel:BYTE_0 src1_sel:DWORD
	v_lshrrev_b16_e32 v26, 10, v22
	v_add_u32_e32 v5, 0x9c, v2
	v_mul_lo_u16_e32 v22, 13, v26
	s_movk_i32 s2, 0x4ec5
	v_sub_u16_e32 v27, v2, v22
	v_mul_u32_u24_sdwa v22, v5, s2 dst_sel:DWORD dst_unused:UNUSED_PAD src0_sel:WORD_0 src1_sel:DWORD
	v_lshrrev_b32_e32 v28, 18, v22
	v_mul_lo_u16_e32 v22, 13, v28
	v_sub_u16_e32 v29, v5, v22
	v_mul_u32_u24_sdwa v22, v6, s2 dst_sel:DWORD dst_unused:UNUSED_PAD src0_sel:WORD_0 src1_sel:DWORD
	v_lshrrev_b32_e32 v30, 18, v22
	v_mul_lo_u16_e32 v22, 13, v30
	v_sub_u16_e32 v31, v6, v22
	v_mul_u32_u24_sdwa v22, v4, s2 dst_sel:DWORD dst_unused:UNUSED_PAD src0_sel:WORD_0 src1_sel:DWORD
	v_lshrrev_b32_e32 v32, 18, v22
	v_add_u32_e32 v7, 0x270, v2
	v_mul_lo_u16_e32 v22, 13, v32
	v_sub_u16_e32 v33, v4, v22
	v_mul_u32_u24_sdwa v22, v7, s2 dst_sel:DWORD dst_unused:UNUSED_PAD src0_sel:WORD_0 src1_sel:DWORD
	v_lshrrev_b32_e32 v34, 18, v22
	v_add_u32_e32 v25, 0x30c, v2
	v_mul_lo_u16_e32 v22, 13, v34
	v_sub_u16_e32 v7, v7, v22
	v_mul_u32_u24_sdwa v22, v25, s2 dst_sel:DWORD dst_unused:UNUSED_PAD src0_sel:WORD_0 src1_sel:DWORD
	v_lshrrev_b32_e32 v22, 18, v22
	v_mul_lo_u16_e32 v35, 13, v22
	v_sub_u16_e32 v25, v25, v35
	v_lshlrev_b32_e32 v25, 2, v25
	v_mov_b32_e32 v38, 2
	v_lshlrev_b32_e32 v31, 2, v31
	v_lshlrev_b32_e32 v33, 2, v33
	;; [unrolled: 1-line block ×3, first 2 shown]
	global_load_dword v7, v25, s[4:5]
	global_load_dword v36, v33, s[4:5]
	global_load_dword v37, v35, s[4:5]
	v_lshlrev_b32_sdwa v27, v38, v27 dst_sel:DWORD dst_unused:UNUSED_PAD src0_sel:DWORD src1_sel:BYTE_0
	v_lshlrev_b32_e32 v29, 2, v29
	global_load_dword v38, v31, s[4:5]
	global_load_dword v39, v29, s[4:5]
	;; [unrolled: 1-line block ×3, first 2 shown]
	v_mul_u32_u24_e32 v26, 0x68, v26
	v_mul_u32_u24_e32 v28, 0x68, v28
	v_add3_u32 v26, 0, v26, v27
	v_add3_u32 v27, 0, v28, v29
	s_mov_b32 s2, 0xffff
	s_mov_b32 s6, 0x5040100
	s_movk_i32 s3, 0x68
	s_waitcnt lgkmcnt(0)
	s_barrier
	s_waitcnt vmcnt(5)
	v_mul_f16_sdwa v28, v20, v7 dst_sel:DWORD dst_unused:UNUSED_PAD src0_sel:DWORD src1_sel:WORD_1
	v_mul_f16_sdwa v29, v3, v7 dst_sel:DWORD dst_unused:UNUSED_PAD src0_sel:DWORD src1_sel:WORD_1
	s_waitcnt vmcnt(4)
	v_pk_mul_f16 v41, v36, v14 op_sel:[0,1]
	s_waitcnt vmcnt(3)
	v_pk_mul_f16 v42, v37, v15 op_sel:[0,1]
	;; [unrolled: 2-line block ×4, first 2 shown]
	v_pk_mul_f16 v44, v39, v12 op_sel:[0,1]
	v_fma_f16 v3, v3, v7, v28
	v_fma_f16 v20, v20, v7, -v29
	v_pk_fma_f16 v7, v36, v14, v41 op_sel:[0,0,1] op_sel_hi:[1,0,0] neg_lo:[1,0,0] neg_hi:[1,0,0]
	v_pk_fma_f16 v14, v36, v14, v41 op_sel:[0,0,1] op_sel_hi:[1,0,0]
	v_pk_fma_f16 v28, v37, v15, v42 op_sel:[0,0,1] op_sel_hi:[1,0,0] neg_lo:[1,0,0] neg_hi:[1,0,0]
	v_pk_fma_f16 v15, v37, v15, v42 op_sel:[0,0,1] op_sel_hi:[1,0,0]
	v_pk_fma_f16 v29, v38, v13, v43 op_sel:[0,0,1] op_sel_hi:[1,1,0]
	v_pk_fma_f16 v13, v38, v13, v43 op_sel:[0,0,1] op_sel_hi:[1,0,0] neg_lo:[1,0,0] neg_hi:[1,0,0]
	v_pk_fma_f16 v38, v40, v11, v45 op_sel:[0,0,1] op_sel_hi:[1,1,0]
	v_pk_fma_f16 v11, v40, v11, v45 op_sel:[0,0,1] op_sel_hi:[1,0,0] neg_lo:[1,0,0] neg_hi:[1,0,0]
	;; [unrolled: 2-line block ×3, first 2 shown]
	v_bfi_b32 v14, s2, v14, v7
	v_bfi_b32 v15, s2, v15, v28
	v_sub_f16_e32 v12, v21, v20
	v_bfi_b32 v28, s2, v38, v11
	v_sub_f16_e32 v7, v19, v3
	v_bfi_b32 v3, s2, v29, v13
	v_bfi_b32 v20, s2, v36, v37
	v_pk_add_f16 v13, v24, v14 neg_lo:[0,1] neg_hi:[0,1]
	v_pk_add_f16 v14, v10, v15 neg_lo:[0,1] neg_hi:[0,1]
	v_fma_f16 v15, v21, 2.0, -v12
	v_pk_add_f16 v21, v8, v28 neg_lo:[0,1] neg_hi:[0,1]
	v_pk_add_f16 v20, v9, v20 neg_lo:[0,1] neg_hi:[0,1]
	v_pk_fma_f16 v8, v8, 2.0, v21 op_sel_hi:[1,0,1] neg_lo:[0,0,1] neg_hi:[0,0,1]
	v_pk_fma_f16 v9, v9, 2.0, v20 op_sel_hi:[1,0,1] neg_lo:[0,0,1] neg_hi:[0,0,1]
	ds_write2_b32 v26, v8, v21 offset1:13
	ds_write2_b32 v27, v9, v20 offset1:13
	v_perm_b32 v8, v32, v30, s6
	v_pk_mul_lo_u16 v8, v8, s3 op_sel_hi:[1,0]
	v_fma_f16 v11, v19, 2.0, -v7
	v_pk_add_f16 v19, v23, v3 neg_lo:[0,1] neg_hi:[0,1]
	v_and_b32_e32 v9, 0xfff8, v8
	v_lshrrev_b32_e32 v8, 16, v8
	v_pk_fma_f16 v3, v24, 2.0, v13 op_sel_hi:[1,0,1] neg_lo:[0,0,1] neg_hi:[0,0,1]
	v_pk_fma_f16 v23, v23, 2.0, v19 op_sel_hi:[1,0,1] neg_lo:[0,0,1] neg_hi:[0,0,1]
	v_add3_u32 v9, 0, v9, v31
	v_add3_u32 v8, 0, v8, v33
	ds_write2_b32 v9, v23, v19 offset1:13
	ds_write2_b32 v8, v3, v13 offset1:13
	v_mul_u32_u24_e32 v8, 0x68, v34
	v_pk_fma_f16 v10, v10, 2.0, v14 op_sel_hi:[1,0,1] neg_lo:[0,0,1] neg_hi:[0,0,1]
	v_add3_u32 v8, 0, v8, v35
	ds_write2_b32 v8, v10, v14 offset1:13
	s_and_saveexec_b64 s[2:3], vcc
	s_cbranch_execz .LBB0_17
; %bb.16:
	v_mul_lo_u16_e32 v8, 26, v22
	v_lshlrev_b32_e32 v8, 2, v8
	v_add3_u32 v8, 0, v25, v8
	v_perm_b32 v9, v15, v11, s6
	v_perm_b32 v19, v12, v7, s6
	ds_write2_b32 v8, v9, v19 offset1:13
.LBB0_17:
	s_or_b64 exec, exec, s[2:3]
	s_waitcnt lgkmcnt(0)
	s_barrier
	ds_read_b32 v8, v16
	ds_read_b32 v22, v16 offset:1144
	ds_read_b32 v21, v16 offset:2288
	;; [unrolled: 1-line block ×5, first 2 shown]
	s_movk_i32 s2, 0x82
	v_cmp_gt_u32_e64 s[2:3], s2, v2
	s_and_saveexec_b64 s[6:7], s[2:3]
	s_cbranch_execz .LBB0_19
; %bb.18:
	ds_read_b32 v11, v16 offset:5200
	ds_read_b32 v7, v16 offset:6344
	;; [unrolled: 1-line block ×6, first 2 shown]
	s_waitcnt lgkmcnt(5)
	v_lshrrev_b32_e32 v15, 16, v11
	s_waitcnt lgkmcnt(4)
	v_lshrrev_b32_e32 v12, 16, v7
.LBB0_19:
	s_or_b64 exec, exec, s[6:7]
	s_movk_i32 s6, 0x4f
	v_mul_lo_u16_sdwa v23, v2, s6 dst_sel:DWORD dst_unused:UNUSED_PAD src0_sel:BYTE_0 src1_sel:DWORD
	v_lshrrev_b16_e32 v23, 11, v23
	v_mul_lo_u16_e32 v24, 26, v23
	v_sub_u16_e32 v28, v2, v24
	v_mov_b32_e32 v24, 5
	v_mul_u32_u24_sdwa v24, v28, v24 dst_sel:DWORD dst_unused:UNUSED_PAD src0_sel:BYTE_0 src1_sel:DWORD
	v_lshlrev_b32_e32 v29, 2, v24
	global_load_dwordx4 v[24:27], v29, s[4:5] offset:52
	global_load_dword v30, v29, s[4:5] offset:68
	v_mov_b32_e32 v36, 2
	s_waitcnt lgkmcnt(4)
	v_lshrrev_b32_e32 v31, 16, v22
	s_waitcnt lgkmcnt(2)
	v_lshrrev_b32_e32 v33, 16, v20
	v_mul_u32_u24_e32 v23, 0x270, v23
	v_lshlrev_b32_sdwa v28, v36, v28 dst_sel:DWORD dst_unused:UNUSED_PAD src0_sel:DWORD src1_sel:BYTE_0
	v_lshrrev_b32_e32 v32, 16, v21
	s_waitcnt lgkmcnt(1)
	v_lshrrev_b32_e32 v34, 16, v19
	s_waitcnt lgkmcnt(0)
	v_lshrrev_b32_e32 v35, 16, v9
	v_add3_u32 v23, 0, v23, v28
	v_lshrrev_b32_e32 v29, 16, v8
	s_mov_b32 s9, 0xbaee
	s_movk_i32 s8, 0x3aee
	s_barrier
	s_waitcnt vmcnt(1)
	v_mul_f16_sdwa v28, v24, v31 dst_sel:DWORD dst_unused:UNUSED_PAD src0_sel:WORD_1 src1_sel:DWORD
	v_mul_f16_sdwa v36, v24, v22 dst_sel:DWORD dst_unused:UNUSED_PAD src0_sel:WORD_1 src1_sel:DWORD
	;; [unrolled: 1-line block ×4, first 2 shown]
	s_waitcnt vmcnt(0)
	v_mul_f16_sdwa v44, v30, v9 dst_sel:DWORD dst_unused:UNUSED_PAD src0_sel:WORD_1 src1_sel:DWORD
	v_mul_f16_sdwa v37, v25, v32 dst_sel:DWORD dst_unused:UNUSED_PAD src0_sel:WORD_1 src1_sel:DWORD
	;; [unrolled: 1-line block ×6, first 2 shown]
	v_fma_f16 v22, v24, v22, v28
	v_fma_f16 v24, v24, v31, -v36
	v_fma_f16 v20, v26, v20, v39
	v_fma_f16 v26, v26, v33, -v40
	v_fma_f16 v28, v30, v35, -v44
	v_fma_f16 v21, v25, v21, v37
	v_fma_f16 v25, v25, v32, -v38
	v_fma_f16 v19, v27, v19, v41
	;; [unrolled: 2-line block ×3, first 2 shown]
	v_sub_f16_e32 v36, v26, v28
	v_add_f16_e32 v37, v24, v26
	v_add_f16_e32 v26, v26, v28
	;; [unrolled: 1-line block ×3, first 2 shown]
	v_sub_f16_e32 v32, v25, v27
	v_add_f16_e32 v33, v29, v25
	v_add_f16_e32 v25, v25, v27
	;; [unrolled: 1-line block ×4, first 2 shown]
	v_sub_f16_e32 v20, v20, v9
	v_fma_f16 v24, v26, -0.5, v24
	v_add_f16_e32 v31, v21, v19
	v_sub_f16_e32 v21, v21, v19
	v_add_f16_e32 v19, v30, v19
	v_add_f16_e32 v27, v33, v27
	v_fma_f16 v25, v25, -0.5, v29
	v_add_f16_e32 v9, v34, v9
	v_fma_f16 v22, v35, -0.5, v22
	v_add_f16_e32 v28, v37, v28
	v_fma_f16 v30, v20, s8, v24
	v_fma_f16 v20, v20, s9, v24
	v_fma_f16 v8, v31, -0.5, v8
	v_fma_f16 v29, v21, s8, v25
	v_fma_f16 v21, v21, s9, v25
	;; [unrolled: 1-line block ×4, first 2 shown]
	v_add_f16_e32 v24, v19, v9
	v_add_f16_e32 v31, v27, v28
	v_sub_f16_e32 v9, v19, v9
	v_sub_f16_e32 v19, v27, v28
	v_mul_f16_e32 v27, 0xbaee, v30
	v_mul_f16_e32 v28, 0xbaee, v20
	v_mul_f16_e32 v30, 0.5, v30
	v_mul_f16_e32 v20, -0.5, v20
	v_fma_f16 v26, v32, s9, v8
	v_fma_f16 v8, v32, s8, v8
	v_fma_f16 v27, v25, 0.5, v27
	v_fma_f16 v28, v22, -0.5, v28
	v_fma_f16 v25, v25, s8, v30
	v_fma_f16 v20, v22, s8, v20
	v_pack_b32_f16 v24, v24, v31
	v_add_f16_e32 v22, v26, v27
	v_add_f16_e32 v30, v8, v28
	;; [unrolled: 1-line block ×4, first 2 shown]
	v_sub_f16_e32 v26, v26, v27
	v_sub_f16_e32 v8, v8, v28
	;; [unrolled: 1-line block ×4, first 2 shown]
	v_pack_b32_f16 v21, v22, v31
	v_pack_b32_f16 v22, v30, v32
	;; [unrolled: 1-line block ×3, first 2 shown]
	ds_write2_b32 v23, v22, v9 offset0:52 offset1:78
	v_pack_b32_f16 v9, v26, v25
	v_pack_b32_f16 v8, v8, v20
	ds_write2_b32 v23, v24, v21 offset1:26
	ds_write2_b32 v23, v9, v8 offset0:104 offset1:130
	s_and_saveexec_b64 s[6:7], s[2:3]
	s_cbranch_execz .LBB0_21
; %bb.20:
	s_movk_i32 s2, 0x4ec5
	v_mul_u32_u24_sdwa v8, v5, s2 dst_sel:DWORD dst_unused:UNUSED_PAD src0_sel:WORD_0 src1_sel:DWORD
	v_lshrrev_b32_e32 v8, 19, v8
	v_mul_lo_u16_e32 v9, 26, v8
	v_sub_u16_e32 v5, v5, v9
	v_mul_u32_u24_e32 v9, 5, v5
	v_lshlrev_b32_e32 v9, 2, v9
	global_load_dwordx4 v[20:23], v9, s[4:5] offset:52
	global_load_dword v19, v9, s[4:5] offset:68
	v_mul_lo_u16_e32 v8, 0x9c, v8
	v_lshlrev_b32_e32 v8, 2, v8
	v_lshlrev_b32_e32 v5, 2, v5
	v_lshrrev_b32_e32 v9, 16, v10
	v_lshrrev_b32_e32 v25, 16, v13
	;; [unrolled: 1-line block ×3, first 2 shown]
	v_add3_u32 v5, 0, v5, v8
	v_lshrrev_b32_e32 v24, 16, v3
	s_waitcnt vmcnt(1)
	v_mul_f16_sdwa v8, v10, v21 dst_sel:DWORD dst_unused:UNUSED_PAD src0_sel:DWORD src1_sel:WORD_1
	v_mul_f16_sdwa v27, v11, v23 dst_sel:DWORD dst_unused:UNUSED_PAD src0_sel:DWORD src1_sel:WORD_1
	;; [unrolled: 1-line block ×3, first 2 shown]
	s_waitcnt vmcnt(0)
	v_mul_f16_sdwa v34, v7, v19 dst_sel:DWORD dst_unused:UNUSED_PAD src0_sel:DWORD src1_sel:WORD_1
	v_mul_f16_sdwa v28, v9, v21 dst_sel:DWORD dst_unused:UNUSED_PAD src0_sel:DWORD src1_sel:WORD_1
	;; [unrolled: 1-line block ×7, first 2 shown]
	v_fma_f16 v8, v9, v21, -v8
	v_fma_f16 v9, v15, v23, -v27
	;; [unrolled: 1-line block ×4, first 2 shown]
	v_fma_f16 v10, v10, v21, v28
	v_fma_f16 v11, v11, v23, v29
	v_fma_f16 v13, v13, v20, v30
	v_fma_f16 v14, v14, v22, v31
	v_fma_f16 v7, v7, v19, v32
	v_fma_f16 v19, v25, v20, -v35
	v_add_f16_e32 v25, v15, v12
	v_add_f16_e32 v20, v8, v9
	v_sub_f16_e32 v21, v10, v11
	v_add_f16_e32 v22, v14, v7
	v_sub_f16_e32 v23, v15, v12
	v_sub_f16_e32 v26, v14, v7
	v_add_f16_e32 v27, v24, v8
	v_add_f16_e32 v15, v19, v15
	;; [unrolled: 1-line block ×5, first 2 shown]
	v_fma_f16 v19, v25, -0.5, v19
	v_sub_f16_e32 v8, v8, v9
	v_fma_f16 v20, v20, -0.5, v24
	v_fma_f16 v13, v22, -0.5, v13
	v_add_f16_e32 v9, v27, v9
	v_add_f16_e32 v12, v15, v12
	v_fma_f16 v3, v28, -0.5, v3
	v_add_f16_e32 v10, v10, v11
	v_add_f16_e32 v7, v14, v7
	v_fma_f16 v15, v26, s9, v19
	v_fma_f16 v19, v26, s8, v19
	;; [unrolled: 1-line block ×6, first 2 shown]
	v_sub_f16_e32 v21, v9, v12
	v_fma_f16 v22, v8, s8, v3
	v_fma_f16 v3, v8, s9, v3
	v_sub_f16_e32 v8, v10, v7
	v_add_f16_e32 v9, v9, v12
	v_add_f16_e32 v7, v10, v7
	v_mul_f16_e32 v10, -0.5, v15
	v_mul_f16_e32 v12, 0.5, v19
	v_mul_f16_e32 v19, 0xbaee, v19
	v_mul_f16_e32 v15, 0xbaee, v15
	v_pack_b32_f16 v7, v7, v9
	v_fma_f16 v9, v14, s8, v10
	v_fma_f16 v10, v13, s8, v12
	v_fma_f16 v13, v13, 0.5, v19
	v_pack_b32_f16 v8, v8, v21
	v_fma_f16 v12, v14, -0.5, v15
	v_sub_f16_e32 v15, v20, v10
	v_sub_f16_e32 v21, v3, v13
	v_add_f16_e32 v10, v20, v10
	v_add_f16_e32 v3, v3, v13
	v_sub_f16_e32 v14, v11, v9
	v_sub_f16_e32 v19, v22, v12
	v_add_f16_e32 v9, v11, v9
	v_add_f16_e32 v11, v22, v12
	v_pack_b32_f16 v3, v3, v10
	v_pack_b32_f16 v9, v11, v9
	;; [unrolled: 1-line block ×4, first 2 shown]
	ds_write2_b32 v5, v7, v3 offset1:26
	ds_write2_b32 v5, v9, v8 offset0:52 offset1:78
	ds_write2_b32 v5, v10, v11 offset0:104 offset1:130
.LBB0_21:
	s_or_b64 exec, exec, s[6:7]
	v_mul_u32_u24_e32 v3, 10, v2
	v_lshlrev_b32_e32 v3, 2, v3
	s_waitcnt lgkmcnt(0)
	s_barrier
	global_load_dwordx4 v[8:11], v3, s[4:5] offset:572
	global_load_dwordx4 v[12:15], v3, s[4:5] offset:588
	global_load_dwordx2 v[20:21], v3, s[4:5] offset:604
	ds_read2_b32 v[22:23], v16 offset1:156
	ds_read_b32 v3, v18
	ds_read_b32 v5, v17
	ds_read_b32 v31, v16 offset:6240
	v_add_u32_e32 v7, 0x900, v16
	v_add_u32_e32 v19, 0xe00, v16
	;; [unrolled: 1-line block ×3, first 2 shown]
	ds_read2_b32 v[24:25], v7 offset0:48 offset1:204
	ds_read2_b32 v[26:27], v19 offset0:40 offset1:196
	;; [unrolled: 1-line block ×3, first 2 shown]
	s_waitcnt lgkmcnt(6)
	v_lshrrev_b32_e32 v33, 16, v23
	s_waitcnt lgkmcnt(5)
	v_lshrrev_b32_e32 v34, 16, v3
	s_waitcnt lgkmcnt(3)
	v_lshrrev_b32_e32 v32, 16, v31
	v_lshrrev_b32_e32 v35, 16, v5
	s_waitcnt lgkmcnt(2)
	v_lshrrev_b32_e32 v40, 16, v24
	v_lshrrev_b32_e32 v41, 16, v25
	s_waitcnt lgkmcnt(1)
	v_lshrrev_b32_e32 v36, 16, v26
	;; [unrolled: 3-line block ×3, first 2 shown]
	v_lshrrev_b32_e32 v39, 16, v29
	s_mov_b32 s2, 0xb853
	s_movk_i32 s10, 0x3abb
	s_movk_i32 s11, 0x3853
	s_mov_b32 s6, 0xbb47
	s_movk_i32 s7, 0x36a6
	s_movk_i32 s8, 0x3b47
	s_mov_b32 s3, 0xbbeb
	s_mov_b32 s9, 0xb08e
	s_movk_i32 s12, 0x3beb
	s_mov_b32 s13, 0xba0c
	s_mov_b32 s14, 0xb93d
	;; [unrolled: 3-line block ×3, first 2 shown]
	s_movk_i32 s18, 0x3482
	s_barrier
	s_add_u32 s4, s4, 0x1a9c
	s_addc_u32 s5, s5, 0
	s_waitcnt vmcnt(2)
	v_mul_f16_sdwa v42, v8, v33 dst_sel:DWORD dst_unused:UNUSED_PAD src0_sel:WORD_1 src1_sel:DWORD
	v_mul_f16_sdwa v43, v8, v23 dst_sel:DWORD dst_unused:UNUSED_PAD src0_sel:WORD_1 src1_sel:DWORD
	;; [unrolled: 1-line block ×4, first 2 shown]
	v_fma_f16 v23, v8, v23, v42
	v_fma_f16 v8, v8, v33, -v43
	v_mul_f16_sdwa v46, v10, v35 dst_sel:DWORD dst_unused:UNUSED_PAD src0_sel:WORD_1 src1_sel:DWORD
	v_mul_f16_sdwa v47, v10, v5 dst_sel:DWORD dst_unused:UNUSED_PAD src0_sel:WORD_1 src1_sel:DWORD
	s_waitcnt vmcnt(0)
	v_mul_f16_sdwa v60, v32, v21 dst_sel:DWORD dst_unused:UNUSED_PAD src0_sel:DWORD src1_sel:WORD_1
	v_mul_f16_sdwa v61, v31, v21 dst_sel:DWORD dst_unused:UNUSED_PAD src0_sel:DWORD src1_sel:WORD_1
	v_fma_f16 v3, v9, v3, v44
	v_fma_f16 v9, v9, v34, -v45
	v_add_f16_sdwa v33, v8, v22 dst_sel:DWORD dst_unused:UNUSED_PAD src0_sel:DWORD src1_sel:WORD_1
	v_mul_f16_sdwa v48, v11, v40 dst_sel:DWORD dst_unused:UNUSED_PAD src0_sel:WORD_1 src1_sel:DWORD
	v_mul_f16_sdwa v49, v11, v24 dst_sel:DWORD dst_unused:UNUSED_PAD src0_sel:WORD_1 src1_sel:DWORD
	v_fma_f16 v5, v10, v5, v46
	v_fma_f16 v10, v10, v35, -v47
	v_fma_f16 v31, v31, v21, v60
	v_fma_f16 v21, v32, v21, -v61
	v_add_f16_e32 v32, v23, v22
	v_add_f16_e32 v33, v33, v9
	v_mul_f16_sdwa v50, v12, v41 dst_sel:DWORD dst_unused:UNUSED_PAD src0_sel:WORD_1 src1_sel:DWORD
	v_mul_f16_sdwa v51, v12, v25 dst_sel:DWORD dst_unused:UNUSED_PAD src0_sel:WORD_1 src1_sel:DWORD
	v_fma_f16 v24, v11, v24, v48
	v_fma_f16 v11, v11, v40, -v49
	v_add_f16_e32 v32, v32, v3
	v_add_f16_e32 v33, v33, v10
	v_mul_f16_sdwa v52, v36, v13 dst_sel:DWORD dst_unused:UNUSED_PAD src0_sel:DWORD src1_sel:WORD_1
	v_mul_f16_sdwa v53, v26, v13 dst_sel:DWORD dst_unused:UNUSED_PAD src0_sel:DWORD src1_sel:WORD_1
	v_fma_f16 v25, v12, v25, v50
	v_fma_f16 v12, v12, v41, -v51
	v_add_f16_e32 v32, v32, v5
	v_add_f16_e32 v33, v33, v11
	v_mul_f16_sdwa v54, v37, v14 dst_sel:DWORD dst_unused:UNUSED_PAD src0_sel:DWORD src1_sel:WORD_1
	v_mul_f16_sdwa v55, v27, v14 dst_sel:DWORD dst_unused:UNUSED_PAD src0_sel:DWORD src1_sel:WORD_1
	;; [unrolled: 6-line block ×4, first 2 shown]
	v_fma_f16 v28, v28, v15, v56
	v_fma_f16 v15, v38, v15, -v57
	v_add_f16_e32 v32, v32, v26
	v_add_f16_e32 v33, v33, v14
	v_fma_f16 v29, v29, v20, v58
	v_fma_f16 v20, v39, v20, -v59
	v_add_f16_e32 v32, v32, v27
	v_add_f16_e32 v33, v33, v15
	;; [unrolled: 1-line block ×3, first 2 shown]
	v_sub_f16_e32 v8, v8, v21
	v_add_f16_e32 v32, v32, v28
	v_add_f16_e32 v33, v33, v20
	;; [unrolled: 1-line block ×3, first 2 shown]
	v_sub_f16_e32 v23, v23, v31
	v_mul_f16_e32 v36, 0xb853, v8
	v_add_f16_e32 v32, v32, v29
	v_add_f16_e32 v21, v33, v21
	v_mul_f16_e32 v33, 0x3abb, v35
	v_mul_f16_e32 v38, 0xbb47, v8
	;; [unrolled: 1-line block ×9, first 2 shown]
	v_add_f16_e32 v31, v32, v31
	v_fma_f16 v32, v34, s10, v36
	v_fma_f16 v37, v23, s11, v33
	v_fma_f16 v36, v34, s10, -v36
	v_fma_f16 v33, v23, s2, v33
	v_fma_f16 v39, v34, s7, v38
	v_fma_f16 v41, v23, s8, v40
	v_fma_f16 v38, v34, s7, -v38
	v_fma_f16 v40, v23, s6, v40
	;; [unrolled: 4-line block ×5, first 2 shown]
	v_add_f16_e32 v34, v9, v20
	v_sub_f16_e32 v9, v9, v20
	v_add_f16_e32 v32, v32, v22
	v_add_f16_sdwa v37, v37, v22 dst_sel:DWORD dst_unused:UNUSED_PAD src0_sel:DWORD src1_sel:WORD_1
	v_add_f16_e32 v36, v36, v22
	v_add_f16_sdwa v33, v33, v22 dst_sel:DWORD dst_unused:UNUSED_PAD src0_sel:DWORD src1_sel:WORD_1
	;; [unrolled: 2-line block ×10, first 2 shown]
	v_add_f16_e32 v23, v3, v29
	v_mul_f16_e32 v20, 0xbb47, v9
	v_sub_f16_e32 v3, v3, v29
	v_fma_f16 v29, v23, s7, v20
	v_add_f16_e32 v29, v29, v32
	v_mul_f16_e32 v32, 0x36a6, v34
	v_fma_f16 v35, v3, s8, v32
	v_fma_f16 v32, v3, s6, v32
	v_fma_f16 v20, v23, s7, -v20
	v_add_f16_e32 v32, v32, v33
	v_mul_f16_e32 v33, 0xba0c, v9
	v_add_f16_e32 v35, v35, v37
	v_add_f16_e32 v20, v20, v36
	v_fma_f16 v36, v23, s14, v33
	v_mul_f16_e32 v37, 0xb93d, v34
	v_fma_f16 v33, v23, s14, -v33
	v_add_f16_e32 v36, v36, v39
	v_fma_f16 v39, v3, s15, v37
	v_add_f16_e32 v33, v33, v38
	v_fma_f16 v37, v3, s13, v37
	v_mul_f16_e32 v38, 0x3482, v9
	v_add_f16_e32 v39, v39, v41
	v_add_f16_e32 v37, v37, v40
	v_fma_f16 v40, v23, s17, v38
	v_mul_f16_e32 v41, 0xbbad, v34
	v_fma_f16 v38, v23, s17, -v38
	v_add_f16_e32 v40, v40, v43
	v_fma_f16 v43, v3, s16, v41
	v_add_f16_e32 v38, v38, v42
	v_fma_f16 v41, v3, s18, v41
	v_mul_f16_e32 v42, 0x3beb, v9
	v_add_f16_e32 v43, v43, v45
	v_add_f16_e32 v41, v41, v44
	v_fma_f16 v44, v23, s9, v42
	v_mul_f16_e32 v45, 0xb08e, v34
	v_add_f16_e32 v44, v44, v47
	v_fma_f16 v47, v3, s3, v45
	v_fma_f16 v45, v3, s12, v45
	v_mul_f16_e32 v34, 0x3abb, v34
	v_fma_f16 v42, v23, s9, -v42
	v_add_f16_e32 v45, v45, v48
	v_mul_f16_e32 v9, 0x3853, v9
	v_fma_f16 v48, v3, s2, v34
	v_fma_f16 v3, v3, s11, v34
	v_add_f16_e32 v42, v42, v46
	v_fma_f16 v46, v23, s10, v9
	v_fma_f16 v9, v23, s10, -v9
	v_add_f16_e32 v3, v3, v22
	v_add_f16_e32 v22, v10, v15
	v_sub_f16_e32 v10, v10, v15
	v_add_f16_e32 v8, v9, v8
	v_add_f16_e32 v9, v5, v28
	v_mul_f16_e32 v15, 0xbbeb, v10
	v_sub_f16_e32 v5, v5, v28
	v_fma_f16 v23, v9, s9, v15
	v_mul_f16_e32 v28, 0xb08e, v22
	v_fma_f16 v15, v9, s9, -v15
	v_add_f16_e32 v23, v23, v29
	v_fma_f16 v29, v5, s12, v28
	v_add_f16_e32 v15, v15, v20
	v_fma_f16 v20, v5, s3, v28
	v_mul_f16_e32 v28, 0x3482, v10
	v_add_f16_e32 v20, v20, v32
	v_fma_f16 v32, v9, s17, v28
	v_mul_f16_e32 v34, 0xbbad, v22
	v_fma_f16 v28, v9, s17, -v28
	v_add_f16_e32 v29, v29, v35
	v_fma_f16 v35, v5, s16, v34
	v_add_f16_e32 v28, v28, v33
	v_fma_f16 v33, v5, s18, v34
	v_mul_f16_e32 v34, 0x3b47, v10
	v_add_f16_e32 v32, v32, v36
	v_fma_f16 v36, v9, s7, v34
	v_fma_f16 v34, v9, s7, -v34
	v_add_f16_e32 v33, v33, v37
	v_mul_f16_e32 v37, 0x36a6, v22
	v_add_f16_e32 v34, v34, v38
	v_mul_f16_e32 v38, 0xb853, v10
	v_add_f16_e32 v35, v35, v39
	v_add_f16_e32 v36, v36, v40
	v_fma_f16 v39, v5, s6, v37
	v_fma_f16 v37, v5, s8, v37
	;; [unrolled: 1-line block ×3, first 2 shown]
	v_fma_f16 v38, v9, s10, -v38
	v_mul_f16_e32 v10, 0xba0c, v10
	v_add_f16_e32 v37, v37, v41
	v_mul_f16_e32 v41, 0x3abb, v22
	v_add_f16_e32 v38, v38, v42
	v_fma_f16 v42, v9, s14, v10
	v_mul_f16_e32 v22, 0xb93d, v22
	v_fma_f16 v9, v9, s14, -v10
	v_add_f16_e32 v39, v39, v43
	v_add_f16_e32 v40, v40, v44
	v_fma_f16 v43, v5, s11, v41
	v_fma_f16 v41, v5, s2, v41
	;; [unrolled: 1-line block ×3, first 2 shown]
	v_add_f16_e32 v8, v9, v8
	v_fma_f16 v5, v5, s13, v22
	v_add_f16_e32 v9, v11, v14
	v_sub_f16_e32 v11, v11, v14
	v_add_f16_e32 v3, v5, v3
	v_add_f16_e32 v5, v24, v27
	v_mul_f16_e32 v14, 0xba0c, v11
	v_fma_f16 v22, v5, s14, v14
	v_sub_f16_e32 v10, v24, v27
	v_add_f16_e32 v22, v22, v23
	v_mul_f16_e32 v23, 0xb93d, v9
	v_fma_f16 v14, v5, s14, -v14
	v_add_f16_e32 v14, v14, v15
	v_fma_f16 v15, v10, s13, v23
	v_add_f16_e32 v15, v15, v20
	v_mul_f16_e32 v20, 0x3beb, v11
	v_fma_f16 v24, v10, s15, v23
	v_fma_f16 v23, v5, s9, v20
	v_fma_f16 v20, v5, s9, -v20
	v_mul_f16_e32 v27, 0xb08e, v9
	v_add_f16_e32 v20, v20, v28
	v_mul_f16_e32 v28, 0xb853, v11
	v_add_f16_e32 v24, v24, v29
	v_add_f16_e32 v23, v23, v32
	v_fma_f16 v29, v10, s3, v27
	v_fma_f16 v27, v10, s12, v27
	;; [unrolled: 1-line block ×3, first 2 shown]
	v_fma_f16 v28, v5, s10, -v28
	v_add_f16_e32 v27, v27, v33
	v_mul_f16_e32 v33, 0x3abb, v9
	v_add_f16_e32 v28, v28, v34
	v_mul_f16_e32 v34, 0xb482, v11
	v_add_f16_e32 v29, v29, v35
	v_add_f16_e32 v32, v32, v36
	v_fma_f16 v35, v10, s11, v33
	v_fma_f16 v33, v10, s2, v33
	;; [unrolled: 1-line block ×3, first 2 shown]
	v_fma_f16 v34, v5, s17, -v34
	v_mul_f16_e32 v11, 0x3b47, v11
	v_add_f16_e32 v33, v33, v37
	v_mul_f16_e32 v37, 0xbbad, v9
	v_add_f16_e32 v34, v34, v38
	v_fma_f16 v38, v5, s7, v11
	v_mul_f16_e32 v9, 0x36a6, v9
	v_fma_f16 v5, v5, s7, -v11
	v_add_f16_e32 v5, v5, v8
	v_fma_f16 v8, v10, s8, v9
	v_sub_f16_e32 v11, v12, v13
	v_add_f16_e32 v36, v36, v40
	v_fma_f16 v40, v10, s6, v9
	v_add_f16_e32 v3, v8, v3
	v_add_f16_e32 v8, v25, v26
	;; [unrolled: 1-line block ×3, first 2 shown]
	v_mul_f16_e32 v12, 0xb482, v11
	v_fma_f16 v13, v8, s17, v12
	v_add_f16_e32 v35, v35, v39
	v_fma_f16 v39, v10, s18, v37
	v_fma_f16 v37, v10, s16, v37
	v_sub_f16_e32 v10, v25, v26
	v_add_f16_e32 v13, v13, v22
	v_mul_f16_e32 v22, 0xbbad, v9
	v_fma_f16 v12, v8, s17, -v12
	v_add_f16_e32 v12, v12, v14
	v_fma_f16 v14, v10, s16, v22
	v_add_f16_e32 v14, v14, v15
	v_mul_f16_e32 v15, 0x3853, v11
	v_fma_f16 v25, v10, s18, v22
	v_fma_f16 v22, v8, s10, v15
	v_add_f16_e32 v22, v22, v23
	v_mul_f16_e32 v23, 0x3abb, v9
	v_fma_f16 v15, v8, s10, -v15
	v_add_f16_e32 v24, v25, v24
	v_fma_f16 v25, v10, s2, v23
	v_add_f16_e32 v15, v15, v20
	v_fma_f16 v20, v10, s11, v23
	v_mul_f16_e32 v23, 0xba0c, v11
	v_fma_f16 v26, v8, s14, v23
	v_fma_f16 v23, v8, s14, -v23
	v_add_f16_e32 v20, v20, v27
	v_mul_f16_e32 v27, 0xb93d, v9
	v_add_f16_e32 v23, v23, v28
	v_mul_f16_e32 v28, 0x3b47, v11
	v_add_f16_e32 v25, v25, v29
	v_add_f16_e32 v26, v26, v32
	v_fma_f16 v29, v10, s15, v27
	v_fma_f16 v27, v10, s13, v27
	;; [unrolled: 1-line block ×3, first 2 shown]
	v_fma_f16 v28, v8, s7, -v28
	v_mul_f16_e32 v11, 0xbbeb, v11
	v_add_f16_e32 v41, v41, v45
	v_add_f16_e32 v27, v27, v33
	v_mul_f16_e32 v33, 0x36a6, v9
	v_add_f16_e32 v28, v28, v34
	v_fma_f16 v34, v8, s9, v11
	v_mul_f16_e32 v9, 0xb08e, v9
	v_fma_f16 v8, v8, s9, -v11
	v_add_f16_e32 v47, v47, v49
	v_add_f16_e32 v46, v46, v50
	;; [unrolled: 1-line block ×5, first 2 shown]
	v_fma_f16 v35, v10, s6, v33
	v_fma_f16 v33, v10, s8, v33
	v_add_f16_e32 v5, v8, v5
	v_fma_f16 v8, v10, s3, v9
	v_add_f16_e32 v43, v43, v47
	v_add_f16_e32 v42, v42, v46
	;; [unrolled: 1-line block ×9, first 2 shown]
	v_fma_f16 v36, v10, s12, v9
	v_pack_b32_f16 v8, v31, v21
	v_pack_b32_f16 v9, v13, v24
	;; [unrolled: 1-line block ×4, first 2 shown]
	v_add_f16_e32 v35, v35, v39
	v_add_f16_e32 v34, v34, v38
	;; [unrolled: 1-line block ×3, first 2 shown]
	ds_write2_b32 v16, v8, v9 offset1:156
	v_pack_b32_f16 v8, v22, v25
	v_pack_b32_f16 v9, v26, v29
	v_add_u32_e32 v10, 0x400, v16
	ds_write2_b32 v19, v3, v5 offset0:40 offset1:196
	v_pack_b32_f16 v3, v23, v27
	v_pack_b32_f16 v5, v15, v20
	ds_write2_b32 v10, v8, v9 offset0:56 offset1:212
	v_pack_b32_f16 v8, v32, v35
	v_pack_b32_f16 v9, v34, v36
	ds_write2_b32 v30, v3, v5 offset0:96 offset1:252
	v_pack_b32_f16 v3, v12, v14
	ds_write2_b32 v7, v8, v9 offset0:48 offset1:204
	ds_write_b32 v16, v3 offset:6240
	s_waitcnt lgkmcnt(0)
	s_barrier
	ds_read_b32 v5, v16
	v_lshlrev_b32_e32 v3, 2, v2
	v_sub_u32_e32 v12, 0, v3
	v_cmp_ne_u32_e64 s[2:3], 0, v2
                                        ; implicit-def: $vgpr15
                                        ; implicit-def: $vgpr14
                                        ; implicit-def: $vgpr13
                                        ; implicit-def: $vgpr8_vgpr9
	s_and_saveexec_b64 s[6:7], s[2:3]
	s_xor_b64 s[2:3], exec, s[6:7]
	s_cbranch_execz .LBB0_23
; %bb.22:
	v_mov_b32_e32 v3, 0
	v_lshl_add_u64 v[8:9], v[2:3], 2, s[4:5]
	global_load_dword v7, v[8:9], off
	ds_read_b32 v8, v12 offset:6864
	s_waitcnt lgkmcnt(0)
	v_add_f16_sdwa v10, v8, v5 dst_sel:DWORD dst_unused:UNUSED_PAD src0_sel:WORD_1 src1_sel:WORD_1
	v_sub_f16_e32 v11, v5, v8
	v_add_f16_e32 v9, v8, v5
	v_sub_f16_sdwa v5, v5, v8 dst_sel:DWORD dst_unused:UNUSED_PAD src0_sel:WORD_1 src1_sel:WORD_1
	v_mul_f16_e32 v8, 0.5, v10
	v_mul_f16_e32 v10, 0.5, v11
	;; [unrolled: 1-line block ×3, first 2 shown]
	s_waitcnt vmcnt(0)
	v_lshrrev_b32_e32 v11, 16, v7
	v_mul_f16_e32 v14, v11, v10
	v_fma_f16 v13, v8, v11, v5
	v_fma_f16 v5, v8, v11, -v5
	v_fma_f16 v11, v9, 0.5, v14
	v_fma_f16 v9, v9, 0.5, -v14
	v_fma_f16 v15, -v7, v10, v5
	v_fma_f16 v5, v7, v8, v11
	v_fma_f16 v13, -v7, v10, v13
	v_fma_f16 v14, -v7, v8, v9
	ds_write_b16 v16, v5
	v_mov_b64_e32 v[8:9], v[2:3]
                                        ; implicit-def: $vgpr5
.LBB0_23:
	s_andn2_saveexec_b64 s[2:3], s[2:3]
	s_cbranch_execz .LBB0_25
; %bb.24:
	v_mov_b32_e32 v13, 0
	ds_read_u16 v3, v13 offset:3434
	s_waitcnt lgkmcnt(1)
	v_add_f16_sdwa v7, v5, v5 dst_sel:DWORD dst_unused:UNUSED_PAD src0_sel:WORD_1 src1_sel:DWORD
	v_sub_f16_sdwa v14, v5, v5 dst_sel:DWORD dst_unused:UNUSED_PAD src0_sel:DWORD src1_sel:WORD_1
	v_mov_b64_e32 v[8:9], 0
	v_mov_b32_e32 v15, 0
	s_waitcnt lgkmcnt(0)
	v_xor_b32_e32 v3, 0x8000, v3
	ds_write_b16 v16, v7
	ds_write_b16 v13, v3 offset:3434
.LBB0_25:
	s_or_b64 exec, exec, s[2:3]
	v_lshl_add_u64 v[10:11], v[8:9], 2, s[4:5]
	global_load_dword v3, v[10:11], off offset:624
	v_mov_b32_e32 v7, 0
	v_lshl_add_u64 v[20:21], v[6:7], 2, s[4:5]
	global_load_dword v6, v[20:21], off
	s_waitcnt lgkmcnt(0)
	v_mov_b32_e32 v5, v7
	v_lshl_add_u64 v[4:5], v[4:5], 2, s[4:5]
	ds_write_b16 v16, v13 offset:2
	global_load_dword v13, v[10:11], off offset:2496
	s_mov_b32 s2, 0x5040100
	global_load_dword v4, v[4:5], off
	v_perm_b32 v5, v15, v14, s2
	ds_write_b32 v12, v5 offset:6864
	ds_read_b32 v7, v12 offset:6240
	ds_read_b32 v5, v16 offset:624
	s_mov_b32 s4, 0xffff
	s_waitcnt lgkmcnt(0)
	v_pk_add_f16 v14, v5, v7 neg_lo:[0,1] neg_hi:[0,1]
	v_pk_add_f16 v5, v5, v7
	s_nop 0
	v_bfi_b32 v7, s4, v14, v5
	v_bfi_b32 v5, s4, v5, v14
	v_pk_mul_f16 v7, v7, 0.5 op_sel_hi:[1,0]
	v_pk_mul_f16 v5, v5, 0.5 op_sel_hi:[1,0]
	s_waitcnt vmcnt(3)
	v_pk_mul_f16 v15, v3, v7 op_sel_hi:[0,1]
	v_pk_fma_f16 v14, v3, v7, v5 op_sel:[1,0,0]
	v_pk_fma_f16 v19, v3, v7, v5 op_sel:[1,0,0] neg_lo:[1,0,0] neg_hi:[1,0,0]
	v_pk_fma_f16 v3, v3, v7, v5 op_sel:[1,0,0] neg_lo:[0,0,1] neg_hi:[0,0,1]
	v_pk_add_f16 v5, v14, v15 op_sel:[0,1] op_sel_hi:[1,0]
	v_pk_add_f16 v7, v14, v15 op_sel:[0,1] op_sel_hi:[1,0] neg_lo:[0,1] neg_hi:[0,1]
	v_pk_add_f16 v14, v19, v15 op_sel:[0,1] op_sel_hi:[1,0] neg_lo:[0,1] neg_hi:[0,1]
	;; [unrolled: 1-line block ×3, first 2 shown]
	v_bfi_b32 v5, s4, v5, v7
	v_bfi_b32 v3, s4, v14, v3
	ds_write_b32 v16, v5 offset:624
	ds_write_b32 v12, v3 offset:6240
	ds_read_b32 v3, v18
	ds_read_b32 v5, v12 offset:5616
	s_waitcnt lgkmcnt(0)
	v_pk_add_f16 v7, v3, v5 neg_lo:[0,1] neg_hi:[0,1]
	v_pk_add_f16 v3, v3, v5
	s_nop 0
	v_bfi_b32 v5, s4, v7, v3
	v_bfi_b32 v3, s4, v3, v7
	v_pk_mul_f16 v5, v5, 0.5 op_sel_hi:[1,0]
	v_pk_mul_f16 v3, v3, 0.5 op_sel_hi:[1,0]
	s_waitcnt vmcnt(2)
	v_pk_mul_f16 v14, v6, v5 op_sel_hi:[0,1]
	v_pk_fma_f16 v7, v6, v5, v3 op_sel:[1,0,0]
	v_pk_fma_f16 v15, v6, v5, v3 op_sel:[1,0,0] neg_lo:[1,0,0] neg_hi:[1,0,0]
	v_pk_fma_f16 v3, v6, v5, v3 op_sel:[1,0,0] neg_lo:[0,0,1] neg_hi:[0,0,1]
	v_pk_add_f16 v5, v7, v14 op_sel:[0,1] op_sel_hi:[1,0]
	v_pk_add_f16 v6, v7, v14 op_sel:[0,1] op_sel_hi:[1,0] neg_lo:[0,1] neg_hi:[0,1]
	v_pk_add_f16 v7, v15, v14 op_sel:[0,1] op_sel_hi:[1,0] neg_lo:[0,1] neg_hi:[0,1]
	;; [unrolled: 1-line block ×3, first 2 shown]
	v_bfi_b32 v5, s4, v5, v6
	v_bfi_b32 v3, s4, v7, v3
	ds_write_b32 v18, v5
	ds_write_b32 v12, v3 offset:5616
	ds_read_b32 v3, v17
	ds_read_b32 v5, v12 offset:4992
	s_waitcnt lgkmcnt(0)
	v_pk_add_f16 v6, v3, v5 neg_lo:[0,1] neg_hi:[0,1]
	v_pk_add_f16 v3, v3, v5
	s_nop 0
	v_bfi_b32 v5, s4, v6, v3
	v_bfi_b32 v3, s4, v3, v6
	v_pk_mul_f16 v5, v5, 0.5 op_sel_hi:[1,0]
	v_pk_mul_f16 v3, v3, 0.5 op_sel_hi:[1,0]
	s_waitcnt vmcnt(0)
	v_pk_mul_f16 v7, v4, v5 op_sel_hi:[0,1]
	v_pk_fma_f16 v6, v4, v5, v3 op_sel:[1,0,0]
	v_pk_fma_f16 v14, v4, v5, v3 op_sel:[1,0,0] neg_lo:[1,0,0] neg_hi:[1,0,0]
	v_pk_fma_f16 v3, v4, v5, v3 op_sel:[1,0,0] neg_lo:[0,0,1] neg_hi:[0,0,1]
	v_pk_add_f16 v4, v6, v7 op_sel:[0,1] op_sel_hi:[1,0]
	v_pk_add_f16 v5, v6, v7 op_sel:[0,1] op_sel_hi:[1,0] neg_lo:[0,1] neg_hi:[0,1]
	v_pk_add_f16 v6, v14, v7 op_sel:[0,1] op_sel_hi:[1,0] neg_lo:[0,1] neg_hi:[0,1]
	;; [unrolled: 1-line block ×3, first 2 shown]
	v_bfi_b32 v4, s4, v4, v5
	v_bfi_b32 v3, s4, v6, v3
	ds_write_b32 v17, v4
	ds_write_b32 v12, v3 offset:4992
	ds_read_b32 v3, v16 offset:2496
	ds_read_b32 v4, v12 offset:4368
	s_waitcnt lgkmcnt(0)
	v_pk_add_f16 v5, v3, v4 neg_lo:[0,1] neg_hi:[0,1]
	v_pk_add_f16 v3, v3, v4
	s_nop 0
	v_bfi_b32 v4, s4, v5, v3
	v_bfi_b32 v3, s4, v3, v5
	v_pk_mul_f16 v4, v4, 0.5 op_sel_hi:[1,0]
	v_pk_mul_f16 v3, v3, 0.5 op_sel_hi:[1,0]
	v_pk_mul_f16 v6, v13, v4 op_sel_hi:[0,1]
	v_pk_fma_f16 v5, v13, v4, v3 op_sel:[1,0,0]
	v_pk_fma_f16 v7, v13, v4, v3 op_sel:[1,0,0] neg_lo:[1,0,0] neg_hi:[1,0,0]
	v_pk_fma_f16 v3, v13, v4, v3 op_sel:[1,0,0] neg_lo:[0,0,1] neg_hi:[0,0,1]
	v_pk_add_f16 v4, v5, v6 op_sel:[0,1] op_sel_hi:[1,0]
	v_pk_add_f16 v5, v5, v6 op_sel:[0,1] op_sel_hi:[1,0] neg_lo:[0,1] neg_hi:[0,1]
	v_pk_add_f16 v7, v7, v6 op_sel:[0,1] op_sel_hi:[1,0] neg_lo:[0,1] neg_hi:[0,1]
	;; [unrolled: 1-line block ×3, first 2 shown]
	v_bfi_b32 v4, s4, v4, v5
	v_bfi_b32 v3, s4, v7, v3
	ds_write_b32 v16, v4 offset:2496
	ds_write_b32 v12, v3 offset:4368
	s_and_saveexec_b64 s[2:3], vcc
	s_cbranch_execz .LBB0_27
; %bb.26:
	global_load_dword v3, v[10:11], off offset:3120
	ds_read_b32 v4, v16 offset:3120
	ds_read_b32 v5, v12 offset:3744
	s_waitcnt lgkmcnt(0)
	v_pk_add_f16 v6, v4, v5 neg_lo:[0,1] neg_hi:[0,1]
	v_pk_add_f16 v4, v4, v5
	s_nop 0
	v_bfi_b32 v5, s4, v6, v4
	v_bfi_b32 v4, s4, v4, v6
	v_pk_mul_f16 v5, v5, 0.5 op_sel_hi:[1,0]
	v_pk_mul_f16 v4, v4, 0.5 op_sel_hi:[1,0]
	s_waitcnt vmcnt(0)
	v_pk_mul_f16 v7, v3, v5 op_sel_hi:[0,1]
	v_pk_fma_f16 v6, v3, v5, v4 op_sel:[1,0,0]
	v_pk_fma_f16 v10, v3, v5, v4 op_sel:[1,0,0] neg_lo:[1,0,0] neg_hi:[1,0,0]
	v_pk_fma_f16 v3, v3, v5, v4 op_sel:[1,0,0] neg_lo:[0,0,1] neg_hi:[0,0,1]
	v_pk_add_f16 v4, v6, v7 op_sel:[0,1] op_sel_hi:[1,0]
	v_pk_add_f16 v5, v6, v7 op_sel:[0,1] op_sel_hi:[1,0] neg_lo:[0,1] neg_hi:[0,1]
	v_pk_add_f16 v6, v10, v7 op_sel:[0,1] op_sel_hi:[1,0] neg_lo:[0,1] neg_hi:[0,1]
	;; [unrolled: 1-line block ×3, first 2 shown]
	v_bfi_b32 v4, s4, v4, v5
	v_bfi_b32 v3, s4, v6, v3
	ds_write_b32 v16, v4 offset:3120
	ds_write_b32 v12, v3 offset:3744
.LBB0_27:
	s_or_b64 exec, exec, s[2:3]
	s_waitcnt lgkmcnt(0)
	s_barrier
	s_and_saveexec_b64 s[2:3], s[0:1]
	s_cbranch_execz .LBB0_30
; %bb.28:
	ds_read2_b32 v[4:5], v16 offset1:156
	v_add_u32_e32 v3, 0x400, v16
	v_lshl_add_u64 v[6:7], v[8:9], 2, v[0:1]
	ds_read2_b32 v[8:9], v3 offset0:56 offset1:212
	v_add_u32_e32 v3, 0x900, v16
	s_waitcnt lgkmcnt(1)
	global_store_dword v[6:7], v4, off
	global_store_dword v[6:7], v5, off offset:624
	ds_read2_b32 v[4:5], v3 offset0:48 offset1:204
	v_add_u32_e32 v3, 0xe00, v16
	ds_read2_b32 v[10:11], v3 offset0:40 offset1:196
	s_waitcnt lgkmcnt(2)
	global_store_dword v[6:7], v8, off offset:1248
	global_store_dword v[6:7], v9, off offset:1872
	s_waitcnt lgkmcnt(1)
	global_store_dword v[6:7], v4, off offset:2496
	global_store_dword v[6:7], v5, off offset:3120
	s_waitcnt lgkmcnt(0)
	global_store_dword v[6:7], v10, off offset:3744
	v_add_u32_e32 v3, 0x1200, v16
	ds_read2_b32 v[8:9], v3 offset0:96 offset1:252
	ds_read_b32 v3, v16 offset:6240
	v_add_co_u32_e32 v4, vcc, 0x1000, v6
	s_movk_i32 s0, 0x9b
	s_nop 0
	v_addc_co_u32_e32 v5, vcc, 0, v7, vcc
	v_cmp_eq_u32_e32 vcc, s0, v2
	global_store_dword v[4:5], v11, off offset:272
	s_waitcnt lgkmcnt(1)
	global_store_dword v[4:5], v8, off offset:896
	global_store_dword v[4:5], v9, off offset:1520
	s_waitcnt lgkmcnt(0)
	global_store_dword v[4:5], v3, off offset:2144
	s_and_b64 exec, exec, vcc
	s_cbranch_execz .LBB0_30
; %bb.29:
	v_mov_b32_e32 v2, 0
	ds_read_b32 v2, v2 offset:6864
	v_add_co_u32_e32 v0, vcc, 0x1000, v0
	s_nop 1
	v_addc_co_u32_e32 v1, vcc, 0, v1, vcc
	s_waitcnt lgkmcnt(0)
	global_store_dword v[0:1], v2, off offset:2768
.LBB0_30:
	s_endpgm
	.section	.rodata,"a",@progbits
	.p2align	6, 0x0
	.amdhsa_kernel fft_rtc_back_len1716_factors_13_2_6_11_wgs_156_tpt_156_half_ip_CI_unitstride_sbrr_R2C_dirReg
		.amdhsa_group_segment_fixed_size 0
		.amdhsa_private_segment_fixed_size 0
		.amdhsa_kernarg_size 88
		.amdhsa_user_sgpr_count 2
		.amdhsa_user_sgpr_dispatch_ptr 0
		.amdhsa_user_sgpr_queue_ptr 0
		.amdhsa_user_sgpr_kernarg_segment_ptr 1
		.amdhsa_user_sgpr_dispatch_id 0
		.amdhsa_user_sgpr_kernarg_preload_length 0
		.amdhsa_user_sgpr_kernarg_preload_offset 0
		.amdhsa_user_sgpr_private_segment_size 0
		.amdhsa_uses_dynamic_stack 0
		.amdhsa_enable_private_segment 0
		.amdhsa_system_sgpr_workgroup_id_x 1
		.amdhsa_system_sgpr_workgroup_id_y 0
		.amdhsa_system_sgpr_workgroup_id_z 0
		.amdhsa_system_sgpr_workgroup_info 0
		.amdhsa_system_vgpr_workitem_id 0
		.amdhsa_next_free_vgpr 93
		.amdhsa_next_free_sgpr 23
		.amdhsa_accum_offset 96
		.amdhsa_reserve_vcc 1
		.amdhsa_float_round_mode_32 0
		.amdhsa_float_round_mode_16_64 0
		.amdhsa_float_denorm_mode_32 3
		.amdhsa_float_denorm_mode_16_64 3
		.amdhsa_dx10_clamp 1
		.amdhsa_ieee_mode 1
		.amdhsa_fp16_overflow 0
		.amdhsa_tg_split 0
		.amdhsa_exception_fp_ieee_invalid_op 0
		.amdhsa_exception_fp_denorm_src 0
		.amdhsa_exception_fp_ieee_div_zero 0
		.amdhsa_exception_fp_ieee_overflow 0
		.amdhsa_exception_fp_ieee_underflow 0
		.amdhsa_exception_fp_ieee_inexact 0
		.amdhsa_exception_int_div_zero 0
	.end_amdhsa_kernel
	.text
.Lfunc_end0:
	.size	fft_rtc_back_len1716_factors_13_2_6_11_wgs_156_tpt_156_half_ip_CI_unitstride_sbrr_R2C_dirReg, .Lfunc_end0-fft_rtc_back_len1716_factors_13_2_6_11_wgs_156_tpt_156_half_ip_CI_unitstride_sbrr_R2C_dirReg
                                        ; -- End function
	.section	.AMDGPU.csdata,"",@progbits
; Kernel info:
; codeLenInByte = 10644
; NumSgprs: 29
; NumVgprs: 93
; NumAgprs: 0
; TotalNumVgprs: 93
; ScratchSize: 0
; MemoryBound: 0
; FloatMode: 240
; IeeeMode: 1
; LDSByteSize: 0 bytes/workgroup (compile time only)
; SGPRBlocks: 3
; VGPRBlocks: 11
; NumSGPRsForWavesPerEU: 29
; NumVGPRsForWavesPerEU: 93
; AccumOffset: 96
; Occupancy: 5
; WaveLimiterHint : 1
; COMPUTE_PGM_RSRC2:SCRATCH_EN: 0
; COMPUTE_PGM_RSRC2:USER_SGPR: 2
; COMPUTE_PGM_RSRC2:TRAP_HANDLER: 0
; COMPUTE_PGM_RSRC2:TGID_X_EN: 1
; COMPUTE_PGM_RSRC2:TGID_Y_EN: 0
; COMPUTE_PGM_RSRC2:TGID_Z_EN: 0
; COMPUTE_PGM_RSRC2:TIDIG_COMP_CNT: 0
; COMPUTE_PGM_RSRC3_GFX90A:ACCUM_OFFSET: 23
; COMPUTE_PGM_RSRC3_GFX90A:TG_SPLIT: 0
	.text
	.p2alignl 6, 3212836864
	.fill 256, 4, 3212836864
	.type	__hip_cuid_13efb67541242d1a,@object ; @__hip_cuid_13efb67541242d1a
	.section	.bss,"aw",@nobits
	.globl	__hip_cuid_13efb67541242d1a
__hip_cuid_13efb67541242d1a:
	.byte	0                               ; 0x0
	.size	__hip_cuid_13efb67541242d1a, 1

	.ident	"AMD clang version 19.0.0git (https://github.com/RadeonOpenCompute/llvm-project roc-6.4.0 25133 c7fe45cf4b819c5991fe208aaa96edf142730f1d)"
	.section	".note.GNU-stack","",@progbits
	.addrsig
	.addrsig_sym __hip_cuid_13efb67541242d1a
	.amdgpu_metadata
---
amdhsa.kernels:
  - .agpr_count:     0
    .args:
      - .actual_access:  read_only
        .address_space:  global
        .offset:         0
        .size:           8
        .value_kind:     global_buffer
      - .offset:         8
        .size:           8
        .value_kind:     by_value
      - .actual_access:  read_only
        .address_space:  global
        .offset:         16
        .size:           8
        .value_kind:     global_buffer
      - .actual_access:  read_only
        .address_space:  global
        .offset:         24
        .size:           8
        .value_kind:     global_buffer
      - .offset:         32
        .size:           8
        .value_kind:     by_value
      - .actual_access:  read_only
        .address_space:  global
        .offset:         40
        .size:           8
        .value_kind:     global_buffer
      - .actual_access:  read_only
        .address_space:  global
        .offset:         48
        .size:           8
        .value_kind:     global_buffer
      - .offset:         56
        .size:           4
        .value_kind:     by_value
      - .actual_access:  read_only
        .address_space:  global
        .offset:         64
        .size:           8
        .value_kind:     global_buffer
      - .actual_access:  read_only
        .address_space:  global
        .offset:         72
        .size:           8
        .value_kind:     global_buffer
      - .address_space:  global
        .offset:         80
        .size:           8
        .value_kind:     global_buffer
    .group_segment_fixed_size: 0
    .kernarg_segment_align: 8
    .kernarg_segment_size: 88
    .language:       OpenCL C
    .language_version:
      - 2
      - 0
    .max_flat_workgroup_size: 156
    .name:           fft_rtc_back_len1716_factors_13_2_6_11_wgs_156_tpt_156_half_ip_CI_unitstride_sbrr_R2C_dirReg
    .private_segment_fixed_size: 0
    .sgpr_count:     29
    .sgpr_spill_count: 0
    .symbol:         fft_rtc_back_len1716_factors_13_2_6_11_wgs_156_tpt_156_half_ip_CI_unitstride_sbrr_R2C_dirReg.kd
    .uniform_work_group_size: 1
    .uses_dynamic_stack: false
    .vgpr_count:     93
    .vgpr_spill_count: 0
    .wavefront_size: 64
amdhsa.target:   amdgcn-amd-amdhsa--gfx950
amdhsa.version:
  - 1
  - 2
...

	.end_amdgpu_metadata
